;; amdgpu-corpus repo=ROCm/rocFFT kind=compiled arch=gfx1201 opt=O3
	.text
	.amdgcn_target "amdgcn-amd-amdhsa--gfx1201"
	.amdhsa_code_object_version 6
	.protected	fft_rtc_fwd_len224_factors_2_4_4_7_wgs_252_tpt_14_dim2_sp_ip_CI_sbcc_twdbase8_3step_dirReg ; -- Begin function fft_rtc_fwd_len224_factors_2_4_4_7_wgs_252_tpt_14_dim2_sp_ip_CI_sbcc_twdbase8_3step_dirReg
	.globl	fft_rtc_fwd_len224_factors_2_4_4_7_wgs_252_tpt_14_dim2_sp_ip_CI_sbcc_twdbase8_3step_dirReg
	.p2align	8
	.type	fft_rtc_fwd_len224_factors_2_4_4_7_wgs_252_tpt_14_dim2_sp_ip_CI_sbcc_twdbase8_3step_dirReg,@function
fft_rtc_fwd_len224_factors_2_4_4_7_wgs_252_tpt_14_dim2_sp_ip_CI_sbcc_twdbase8_3step_dirReg: ; @fft_rtc_fwd_len224_factors_2_4_4_7_wgs_252_tpt_14_dim2_sp_ip_CI_sbcc_twdbase8_3step_dirReg
; %bb.0:
	s_load_b128 s[4:7], s[0:1], 0x10
	s_mov_b32 s3, 0
	s_mov_b32 s8, 0x38e27e00
	;; [unrolled: 1-line block ×4, first 2 shown]
	s_movk_i32 s10, 0xffee
	s_add_nc_u64 s[8:9], s[2:3], s[8:9]
	s_mov_b32 s11, -1
	s_add_co_i32 s9, s9, 0xe38e350
	s_mov_b32 s18, -1
	s_mul_u64 s[12:13], s[8:9], s[10:11]
	s_delay_alu instid0(SALU_CYCLE_1)
	s_mul_hi_u32 s2, s8, s12
	s_mul_i32 s15, s9, s12
	s_mul_hi_u32 s14, s9, s12
	s_mul_hi_u32 s16, s9, s13
	s_mul_i32 s12, s9, s13
	s_wait_kmcnt 0x0
	s_load_b64 s[10:11], s[4:5], 0x8
	s_mul_hi_u32 s5, s8, s13
	s_mul_i32 s4, s8, s13
	s_delay_alu instid0(SALU_CYCLE_1) | instskip(NEXT) | instid1(SALU_CYCLE_1)
	s_add_nc_u64 s[4:5], s[2:3], s[4:5]
	s_add_co_u32 s2, s4, s15
	s_add_co_ci_u32 s2, s5, s14
	s_add_co_ci_u32 s13, s16, 0
	s_mov_b64 s[16:17], 0
	s_add_nc_u64 s[4:5], s[2:3], s[12:13]
	s_delay_alu instid0(SALU_CYCLE_1) | instskip(NEXT) | instid1(VALU_DEP_1)
	v_add_co_u32 v1, s2, s8, s4
	s_cmp_lg_u32 s2, 0
	s_add_co_ci_u32 s12, s9, s5
	s_delay_alu instid0(VALU_DEP_1)
	v_readfirstlane_b32 s13, v1
	s_wait_kmcnt 0x0
	s_add_nc_u64 s[4:5], s[10:11], -1
	s_wait_alu 0xfffe
	s_mul_hi_u32 s9, s4, s12
	s_mul_i32 s8, s4, s12
	s_mul_hi_u32 s2, s4, s13
	s_mul_hi_u32 s15, s5, s13
	s_mul_i32 s13, s5, s13
	s_wait_alu 0xfffe
	s_add_nc_u64 s[8:9], s[2:3], s[8:9]
	s_mul_hi_u32 s14, s5, s12
	s_wait_alu 0xfffe
	s_add_co_u32 s2, s8, s13
	s_add_co_ci_u32 s2, s9, s15
	s_mul_i32 s12, s5, s12
	s_add_co_ci_u32 s13, s14, 0
	s_delay_alu instid0(SALU_CYCLE_1) | instskip(NEXT) | instid1(SALU_CYCLE_1)
	s_add_nc_u64 s[12:13], s[2:3], s[12:13]
	s_mul_u64 s[8:9], s[12:13], 18
	s_wait_alu 0xfffe
	v_sub_co_u32 v1, s2, s4, s8
	s_delay_alu instid0(VALU_DEP_1) | instskip(SKIP_1) | instid1(VALU_DEP_1)
	s_cmp_lg_u32 s2, 0
	s_sub_co_ci_u32 s14, s5, s9
	v_sub_co_u32 v2, s4, v1, 18
	s_delay_alu instid0(VALU_DEP_1) | instskip(SKIP_2) | instid1(VALU_DEP_2)
	s_cmp_lg_u32 s4, 0
	v_readfirstlane_b32 s15, v1
	s_sub_co_ci_u32 s8, s14, 0
	v_readfirstlane_b32 s2, v2
	s_add_nc_u64 s[4:5], s[12:13], 1
	s_delay_alu instid0(VALU_DEP_1)
	s_cmp_gt_u32 s2, 17
	s_cselect_b32 s2, -1, 0
	s_wait_alu 0xfffe
	s_cmp_eq_u32 s8, 0
	s_add_nc_u64 s[8:9], s[12:13], 2
	s_cselect_b32 s2, s2, -1
	s_delay_alu instid0(SALU_CYCLE_1)
	s_cmp_lg_u32 s2, 0
	s_wait_alu 0xfffe
	s_cselect_b32 s2, s8, s4
	s_cselect_b32 s4, s9, s5
	s_cmp_gt_u32 s15, 17
	s_load_b64 s[8:9], s[6:7], 0x0
	s_cselect_b32 s5, -1, 0
	s_cmp_eq_u32 s14, 0
	s_wait_alu 0xfffe
	s_cselect_b32 s5, s5, -1
	s_wait_alu 0xfffe
	s_cmp_lg_u32 s5, 0
	s_cselect_b32 s5, s4, s13
	s_cselect_b32 s4, s2, s12
	s_mov_b32 s2, ttmp9
	s_wait_alu 0xfffe
	s_add_nc_u64 s[12:13], s[4:5], 1
	s_delay_alu instid0(SALU_CYCLE_1) | instskip(NEXT) | instid1(VALU_DEP_1)
	v_cmp_lt_u64_e64 s4, s[2:3], s[12:13]
	s_and_b32 vcc_lo, exec_lo, s4
	s_cbranch_vccnz .LBB0_2
; %bb.1:
	v_cvt_f32_u32_e32 v1, s12
	s_sub_co_i32 s5, 0, s12
	s_mov_b32 s17, s3
	s_delay_alu instid0(VALU_DEP_1) | instskip(NEXT) | instid1(TRANS32_DEP_1)
	v_rcp_iflag_f32_e32 v1, v1
	v_mul_f32_e32 v1, 0x4f7ffffe, v1
	s_delay_alu instid0(VALU_DEP_1) | instskip(NEXT) | instid1(VALU_DEP_1)
	v_cvt_u32_f32_e32 v1, v1
	v_readfirstlane_b32 s4, v1
	s_wait_alu 0xfffe
	s_delay_alu instid0(VALU_DEP_1)
	s_mul_i32 s5, s5, s4
	s_wait_alu 0xfffe
	s_mul_hi_u32 s5, s4, s5
	s_wait_alu 0xfffe
	s_add_co_i32 s4, s4, s5
	s_wait_alu 0xfffe
	s_mul_hi_u32 s4, s2, s4
	s_wait_alu 0xfffe
	s_mul_i32 s5, s4, s12
	s_add_co_i32 s14, s4, 1
	s_wait_alu 0xfffe
	s_sub_co_i32 s5, s2, s5
	s_wait_alu 0xfffe
	s_sub_co_i32 s15, s5, s12
	s_cmp_ge_u32 s5, s12
	s_cselect_b32 s4, s14, s4
	s_cselect_b32 s5, s15, s5
	s_wait_alu 0xfffe
	s_add_co_i32 s14, s4, 1
	s_cmp_ge_u32 s5, s12
	s_cselect_b32 s16, s14, s4
.LBB0_2:
	v_mul_u32_u24_e32 v1, 0xe39, v0
	s_load_b128 s[4:7], s[6:7], 0x8
	s_mul_u64 s[12:13], s[16:17], s[12:13]
	s_wait_alu 0xfffe
	s_sub_nc_u64 s[2:3], s[2:3], s[12:13]
	v_lshrrev_b32_e32 v112, 16, v1
	s_clause 0x1
	s_load_b64 s[14:15], s[0:1], 0x0
	s_load_b64 s[12:13], s[0:1], 0x50
	s_mul_u64 s[20:21], s[2:3], 18
	s_delay_alu instid0(SALU_CYCLE_1)
	s_add_nc_u64 s[2:3], s[20:21], 18
	v_mul_lo_u16 v1, v112, 18
	s_wait_alu 0xfffe
	v_cmp_gt_u64_e64 s19, s[2:3], s[10:11]
	v_cmp_le_u64_e64 s3, s[2:3], s[10:11]
	v_add_nc_u32_e32 v34, 14, v112
	v_add_nc_u32_e32 v35, 28, v112
	v_sub_nc_u16 v1, v0, v1
	v_add_nc_u32_e32 v36, 42, v112
	v_add_nc_u32_e32 v37, 56, v112
	s_and_b32 vcc_lo, exec_lo, s19
	s_delay_alu instid0(VALU_DEP_3) | instskip(SKIP_3) | instid1(SALU_CYCLE_1)
	v_and_b32_e32 v114, 0xffff, v1
	s_wait_kmcnt 0x0
	s_mul_u64 s[22:23], s[20:21], s[4:5]
	s_mul_u64 s[6:7], s[6:7], s[16:17]
	s_add_nc_u64 s[6:7], s[6:7], s[22:23]
	v_add_co_u32 v61, s2, s20, v114
	s_wait_alu 0xf1ff
	v_add_co_ci_u32_e64 v62, null, s21, 0, s2
	s_cbranch_vccnz .LBB0_4
; %bb.3:
	v_mad_co_u64_u32 v[1:2], null, s4, v114, 0
	v_mad_co_u64_u32 v[3:4], null, s8, v112, 0
	v_or_b32_e32 v11, 0x70, v112
	s_lshl_b64 s[16:17], s[6:7], 3
	s_delay_alu instid0(SALU_CYCLE_1) | instskip(SKIP_1) | instid1(VALU_DEP_2)
	s_add_nc_u64 s[16:17], s[12:13], s[16:17]
	v_add_nc_u32_e32 v113, 28, v112
	v_mad_co_u64_u32 v[5:6], null, s8, v11, 0
	s_delay_alu instid0(VALU_DEP_4)
	v_mad_co_u64_u32 v[7:8], null, s5, v114, v[2:3]
	v_add_nc_u32_e32 v63, 14, v112
	v_add_nc_u32_e32 v13, 0x7e, v112
	v_add_nc_u32_e32 v33, 42, v112
	v_add_nc_u32_e32 v23, 0x9a, v112
	v_mad_co_u64_u32 v[8:9], null, s9, v112, v[4:5]
	v_mov_b32_e32 v2, v7
	v_mov_b32_e32 v4, v6
	v_mad_co_u64_u32 v[9:10], null, s8, v63, 0
	v_mad_co_u64_u32 v[18:19], null, s8, v33, 0
	s_delay_alu instid0(VALU_DEP_3) | instskip(SKIP_4) | instid1(VALU_DEP_4)
	v_mad_co_u64_u32 v[6:7], null, s9, v11, v[4:5]
	v_mov_b32_e32 v4, v8
	v_lshlrev_b64_e32 v[1:2], 3, v[1:2]
	v_mad_co_u64_u32 v[7:8], null, s8, v13, 0
	v_add_nc_u32_e32 v38, 56, v112
	v_lshlrev_b64_e32 v[3:4], 3, v[3:4]
	v_lshlrev_b64_e32 v[5:6], 3, v[5:6]
	v_add_co_u32 v44, vcc_lo, s16, v1
	v_add_co_ci_u32_e32 v45, vcc_lo, s17, v2, vcc_lo
	v_mad_co_u64_u32 v[1:2], null, s9, v63, v[10:11]
	v_mad_co_u64_u32 v[11:12], null, s8, v113, 0
	v_mov_b32_e32 v2, v8
	v_add_co_u32 v3, vcc_lo, v44, v3
	s_wait_alu 0xfffd
	v_add_co_ci_u32_e32 v4, vcc_lo, v45, v4, vcc_lo
	s_delay_alu instid0(VALU_DEP_4) | instskip(NEXT) | instid1(VALU_DEP_3)
	v_dual_mov_b32 v10, v1 :: v_dual_mov_b32 v1, v12
	v_mad_co_u64_u32 v[13:14], null, s9, v13, v[2:3]
	v_add_co_u32 v14, vcc_lo, v44, v5
	s_wait_alu 0xfffd
	v_add_co_ci_u32_e32 v15, vcc_lo, v45, v6, vcc_lo
	v_mad_co_u64_u32 v[1:2], null, s9, v113, v[1:2]
	s_delay_alu instid0(VALU_DEP_4) | instskip(SKIP_3) | instid1(VALU_DEP_4)
	v_dual_mov_b32 v8, v13 :: v_dual_add_nc_u32 v13, 0x8c, v112
	v_lshlrev_b64_e32 v[5:6], 3, v[9:10]
	v_add_nc_u32_e32 v30, 0xb6, v112
	v_add_nc_u32_e32 v43, 0xd2, v112
	v_mad_co_u64_u32 v[16:17], null, s8, v13, 0
	s_delay_alu instid0(VALU_DEP_4)
	v_add_co_u32 v9, vcc_lo, v44, v5
	s_wait_alu 0xfffd
	v_add_co_ci_u32_e32 v10, vcc_lo, v45, v6, vcc_lo
	v_lshlrev_b64_e32 v[5:6], 3, v[7:8]
	v_mov_b32_e32 v12, v1
	v_mad_co_u64_u32 v[41:42], null, s8, v43, 0
	s_delay_alu instid0(VALU_DEP_3)
	v_add_co_u32 v1, vcc_lo, v44, v5
	v_mov_b32_e32 v5, v17
	s_wait_alu 0xfffd
	v_add_co_ci_u32_e32 v2, vcc_lo, v45, v6, vcc_lo
	v_mov_b32_e32 v6, v19
	v_lshlrev_b64_e32 v[11:12], 3, v[11:12]
	s_delay_alu instid0(VALU_DEP_2)
	v_mad_co_u64_u32 v[19:20], null, s9, v13, v[5:6]
	v_mad_co_u64_u32 v[20:21], null, s9, v33, v[6:7]
	;; [unrolled: 1-line block ×3, first 2 shown]
	s_clause 0x3
	global_load_b64 v[5:6], v[3:4], off
	global_load_b64 v[7:8], v[14:15], off
	;; [unrolled: 1-line block ×4, first 2 shown]
	v_add_co_u32 v9, vcc_lo, v44, v11
	v_mov_b32_e32 v17, v19
	s_wait_alu 0xfffd
	v_add_co_ci_u32_e32 v10, vcc_lo, v45, v12, vcc_lo
	v_mov_b32_e32 v11, v22
	v_mov_b32_e32 v19, v20
	v_lshlrev_b64_e32 v[12:13], 3, v[16:17]
	s_delay_alu instid0(VALU_DEP_1) | instskip(NEXT) | instid1(VALU_DEP_3)
	v_mad_co_u64_u32 v[14:15], null, s9, v23, v[11:12]
	v_lshlrev_b64_e32 v[15:16], 3, v[18:19]
	v_mad_co_u64_u32 v[17:18], null, s8, v38, 0
	v_add_co_u32 v19, vcc_lo, v44, v12
	s_wait_alu 0xfffd
	v_add_co_ci_u32_e32 v20, vcc_lo, v45, v13, vcc_lo
	v_mov_b32_e32 v22, v14
	v_add_co_u32 v13, vcc_lo, v44, v15
	v_mov_b32_e32 v11, v18
	s_wait_alu 0xfffd
	v_add_co_ci_u32_e32 v14, vcc_lo, v45, v16, vcc_lo
	v_lshlrev_b64_e32 v[15:16], 3, v[21:22]
	s_delay_alu instid0(VALU_DEP_3) | instskip(SKIP_1) | instid1(VALU_DEP_3)
	v_mad_co_u64_u32 v[11:12], null, s9, v38, v[11:12]
	v_add_nc_u32_e32 v27, 0xa8, v112
	v_add_co_u32 v23, vcc_lo, v44, v15
	s_wait_alu 0xfffd
	s_delay_alu instid0(VALU_DEP_4) | instskip(NEXT) | instid1(VALU_DEP_4)
	v_add_co_ci_u32_e32 v24, vcc_lo, v45, v16, vcc_lo
	v_mov_b32_e32 v18, v11
	v_mad_co_u64_u32 v[21:22], null, s8, v27, 0
	s_delay_alu instid0(VALU_DEP_2) | instskip(NEXT) | instid1(VALU_DEP_2)
	v_lshlrev_b64_e32 v[17:18], 3, v[17:18]
	v_mov_b32_e32 v12, v22
	s_delay_alu instid0(VALU_DEP_2) | instskip(SKIP_1) | instid1(VALU_DEP_3)
	v_add_co_u32 v17, vcc_lo, v44, v17
	s_wait_alu 0xfffd
	v_add_co_ci_u32_e32 v18, vcc_lo, v45, v18, vcc_lo
	s_delay_alu instid0(VALU_DEP_3)
	v_mad_co_u64_u32 v[27:28], null, s9, v27, v[12:13]
	v_add_nc_u32_e32 v29, 0x46, v112
	s_clause 0x3
	global_load_b64 v[11:12], v[9:10], off
	global_load_b64 v[15:16], v[19:20], off
	;; [unrolled: 1-line block ×4, first 2 shown]
	v_mad_co_u64_u32 v[23:24], null, s8, v30, 0
	v_mov_b32_e32 v22, v27
	v_mad_co_u64_u32 v[25:26], null, s8, v29, 0
	s_delay_alu instid0(VALU_DEP_1) | instskip(NEXT) | instid1(VALU_DEP_1)
	v_mov_b32_e32 v19, v26
	v_mad_co_u64_u32 v[19:20], null, s9, v29, v[19:20]
	s_delay_alu instid0(VALU_DEP_4) | instskip(SKIP_1) | instid1(VALU_DEP_3)
	v_lshlrev_b64_e32 v[20:21], 3, v[21:22]
	v_add_nc_u32_e32 v22, 0x54, v112
	v_dual_mov_b32 v26, v19 :: v_dual_mov_b32 v19, v24
	s_delay_alu instid0(VALU_DEP_2) | instskip(SKIP_1) | instid1(VALU_DEP_3)
	v_mad_co_u64_u32 v[27:28], null, s8, v22, 0
	v_add_nc_u32_e32 v32, 0xc4, v112
	v_lshlrev_b64_e32 v[25:26], 3, v[25:26]
	s_delay_alu instid0(VALU_DEP_4)
	v_mad_co_u64_u32 v[29:30], null, s9, v30, v[19:20]
	v_add_co_u32 v19, vcc_lo, v44, v20
	s_wait_alu 0xfffd
	v_add_co_ci_u32_e32 v20, vcc_lo, v45, v21, vcc_lo
	v_mov_b32_e32 v21, v28
	v_mad_co_u64_u32 v[30:31], null, s8, v32, 0
	v_dual_mov_b32 v24, v29 :: v_dual_add_nc_u32 v29, 0x62, v112
	s_delay_alu instid0(VALU_DEP_3) | instskip(SKIP_1) | instid1(VALU_DEP_3)
	v_mad_co_u64_u32 v[21:22], null, s9, v22, v[21:22]
	v_add_co_u32 v25, vcc_lo, v44, v25
	v_mad_co_u64_u32 v[39:40], null, s8, v29, 0
	v_mov_b32_e32 v22, v31
	s_wait_alu 0xfffd
	v_add_co_ci_u32_e32 v26, vcc_lo, v45, v26, vcc_lo
	v_mov_b32_e32 v28, v21
	s_delay_alu instid0(VALU_DEP_3) | instskip(SKIP_2) | instid1(VALU_DEP_4)
	v_mad_co_u64_u32 v[31:32], null, s9, v32, v[22:23]
	v_lshlrev_b64_e32 v[23:24], 3, v[23:24]
	v_mov_b32_e32 v22, v40
	v_lshlrev_b64_e32 v[27:28], 3, v[27:28]
	s_delay_alu instid0(VALU_DEP_2)
	v_mad_co_u64_u32 v[21:22], null, s9, v29, v[22:23]
	v_mov_b32_e32 v22, v42
	v_add_co_u32 v23, vcc_lo, v44, v23
	v_lshlrev_b64_e32 v[29:30], 3, v[30:31]
	s_wait_alu 0xfffd
	v_add_co_ci_u32_e32 v24, vcc_lo, v45, v24, vcc_lo
	s_delay_alu instid0(VALU_DEP_3) | instskip(SKIP_4) | instid1(VALU_DEP_3)
	v_mad_co_u64_u32 v[42:43], null, s9, v43, v[22:23]
	v_mov_b32_e32 v40, v21
	v_add_co_u32 v21, vcc_lo, v44, v27
	s_wait_alu 0xfffd
	v_add_co_ci_u32_e32 v22, vcc_lo, v45, v28, vcc_lo
	v_lshlrev_b64_e32 v[27:28], 3, v[39:40]
	v_add_co_u32 v39, vcc_lo, v44, v29
	s_wait_alu 0xfffd
	v_add_co_ci_u32_e32 v40, vcc_lo, v45, v30, vcc_lo
	v_lshlrev_b64_e32 v[29:30], 3, v[41:42]
	s_delay_alu instid0(VALU_DEP_4) | instskip(SKIP_2) | instid1(VALU_DEP_3)
	v_add_co_u32 v41, vcc_lo, v44, v27
	s_wait_alu 0xfffd
	v_add_co_ci_u32_e32 v42, vcc_lo, v45, v28, vcc_lo
	v_add_co_u32 v43, vcc_lo, v44, v29
	s_wait_alu 0xfffd
	v_add_co_ci_u32_e32 v44, vcc_lo, v45, v30, vcc_lo
	s_clause 0x7
	global_load_b64 v[27:28], v[17:18], off
	global_load_b64 v[31:32], v[19:20], off
	;; [unrolled: 1-line block ×8, first 2 shown]
	s_cbranch_execz .LBB0_5
	s_branch .LBB0_10
.LBB0_4:
                                        ; implicit-def: $vgpr1
                                        ; implicit-def: $vgpr21
                                        ; implicit-def: $vgpr17
                                        ; implicit-def: $vgpr23
                                        ; implicit-def: $vgpr19
                                        ; implicit-def: $vgpr29
                                        ; implicit-def: $vgpr25
                                        ; implicit-def: $vgpr31
                                        ; implicit-def: $vgpr27
                                        ; implicit-def: $vgpr13
                                        ; implicit-def: $vgpr9
                                        ; implicit-def: $vgpr15
                                        ; implicit-def: $vgpr11
                                        ; implicit-def: $vgpr3
                                        ; implicit-def: $vgpr7
                                        ; implicit-def: $vgpr5
                                        ; implicit-def: $vgpr63
                                        ; implicit-def: $vgpr113
                                        ; implicit-def: $vgpr33
                                        ; implicit-def: $vgpr38
	s_and_not1_b32 vcc_lo, exec_lo, s18
	s_cbranch_vccnz .LBB0_10
.LBB0_5:
	s_mov_b32 s2, exec_lo
                                        ; implicit-def: $vgpr63
                                        ; implicit-def: $vgpr113
                                        ; implicit-def: $vgpr33
                                        ; implicit-def: $vgpr38
	v_cmpx_le_u64_e64 s[10:11], v[61:62]
	s_wait_alu 0xfffe
	s_xor_b32 s2, exec_lo, s2
; %bb.6:
	v_add_nc_u32_e32 v63, 14, v112
	v_add_nc_u32_e32 v113, 28, v112
	;; [unrolled: 1-line block ×4, first 2 shown]
                                        ; implicit-def: $vgpr34
                                        ; implicit-def: $vgpr35
                                        ; implicit-def: $vgpr36
                                        ; implicit-def: $vgpr37
; %bb.7:
	s_wait_alu 0xfffe
	s_or_saveexec_b32 s2, s2
                                        ; implicit-def: $vgpr1
                                        ; implicit-def: $vgpr21
                                        ; implicit-def: $vgpr17
                                        ; implicit-def: $vgpr23
                                        ; implicit-def: $vgpr19
                                        ; implicit-def: $vgpr29
                                        ; implicit-def: $vgpr25
                                        ; implicit-def: $vgpr31
                                        ; implicit-def: $vgpr27
                                        ; implicit-def: $vgpr13
                                        ; implicit-def: $vgpr9
                                        ; implicit-def: $vgpr15
                                        ; implicit-def: $vgpr11
                                        ; implicit-def: $vgpr3
                                        ; implicit-def: $vgpr7
                                        ; implicit-def: $vgpr5
	s_wait_alu 0xfffe
	s_xor_b32 exec_lo, exec_lo, s2
	s_cbranch_execz .LBB0_9
; %bb.8:
	s_wait_loadcnt 0xb
	v_or_b32_e32 v11, 0x70, v112
	v_mad_co_u64_u32 v[1:2], null, s4, v114, 0
	v_mad_co_u64_u32 v[3:4], null, s8, v112, 0
	s_delay_alu instid0(VALU_DEP_3) | instskip(SKIP_4) | instid1(VALU_DEP_4)
	v_mad_co_u64_u32 v[5:6], null, s8, v11, 0
	v_add_nc_u32_e32 v12, 0x7e, v112
	s_lshl_b64 s[16:17], s[6:7], 3
	s_wait_loadcnt 0xa
	v_mad_co_u64_u32 v[15:16], null, s8, v36, 0
	v_mad_co_u64_u32 v[7:8], null, s5, v114, v[2:3]
	s_wait_loadcnt 0x9
	s_delay_alu instid0(VALU_DEP_4) | instskip(SKIP_4) | instid1(VALU_DEP_4)
	v_mad_co_u64_u32 v[8:9], null, s9, v112, v[4:5]
	v_mov_b32_e32 v4, v6
	v_mad_co_u64_u32 v[9:10], null, s8, v34, 0
	s_wait_alu 0xfffe
	s_add_nc_u64 s[16:17], s[12:13], s[16:17]
	v_mov_b32_e32 v2, v7
	v_mad_co_u64_u32 v[6:7], null, s9, v11, v[4:5]
	s_wait_loadcnt 0x0
	v_dual_mov_b32 v4, v8 :: v_dual_add_nc_u32 v21, 0x8c, v112
	v_mad_co_u64_u32 v[7:8], null, s8, v12, 0
	v_lshlrev_b64_e32 v[1:2], 3, v[1:2]
	v_mad_co_u64_u32 v[10:11], null, s9, v34, v[10:11]
	s_delay_alu instid0(VALU_DEP_4)
	v_lshlrev_b64_e32 v[3:4], 3, v[3:4]
	v_lshlrev_b64_e32 v[5:6], 3, v[5:6]
	v_add_nc_u32_e32 v26, 0xa8, v112
	s_wait_alu 0xfffe
	v_add_co_u32 v33, vcc_lo, s16, v1
	v_mov_b32_e32 v1, v8
	s_wait_alu 0xfffd
	v_add_co_ci_u32_e32 v46, vcc_lo, s17, v2, vcc_lo
	v_dual_mov_b32 v63, v34 :: v_dual_add_nc_u32 v30, 0x54, v112
	s_delay_alu instid0(VALU_DEP_3) | instskip(SKIP_4) | instid1(VALU_DEP_4)
	v_mad_co_u64_u32 v[1:2], null, s9, v12, v[1:2]
	v_mad_co_u64_u32 v[11:12], null, s8, v35, 0
	v_add_co_u32 v2, vcc_lo, v33, v3
	s_wait_alu 0xfffd
	v_add_co_ci_u32_e32 v3, vcc_lo, v46, v4, vcc_lo
	v_dual_mov_b32 v8, v1 :: v_dual_add_nc_u32 v25, 0x9a, v112
	s_delay_alu instid0(VALU_DEP_4)
	v_mov_b32_e32 v1, v12
	v_add_co_u32 v13, vcc_lo, v33, v5
	s_wait_alu 0xfffd
	v_add_co_ci_u32_e32 v14, vcc_lo, v46, v6, vcc_lo
	v_lshlrev_b64_e32 v[4:5], 3, v[9:10]
	v_lshlrev_b64_e32 v[6:7], 3, v[7:8]
	v_mad_co_u64_u32 v[8:9], null, s9, v35, v[1:2]
	v_mad_co_u64_u32 v[9:10], null, s8, v21, 0
	s_delay_alu instid0(VALU_DEP_4)
	v_add_co_u32 v17, vcc_lo, v33, v4
	v_mov_b32_e32 v4, v16
	s_wait_alu 0xfffd
	v_add_co_ci_u32_e32 v18, vcc_lo, v46, v5, vcc_lo
	v_add_co_u32 v19, vcc_lo, v33, v6
	v_mov_b32_e32 v1, v10
	s_wait_alu 0xfffd
	v_add_co_ci_u32_e32 v20, vcc_lo, v46, v7, vcc_lo
	v_add_nc_u32_e32 v29, 0xb6, v112
	v_mov_b32_e32 v113, v35
	v_mad_co_u64_u32 v[21:22], null, s9, v21, v[1:2]
	v_mad_co_u64_u32 v[22:23], null, s9, v36, v[4:5]
	;; [unrolled: 1-line block ×3, first 2 shown]
	v_mov_b32_e32 v12, v8
	s_clause 0x3
	global_load_b64 v[5:6], v[2:3], off
	global_load_b64 v[7:8], v[13:14], off
	;; [unrolled: 1-line block ×4, first 2 shown]
	v_mov_b32_e32 v10, v21
	v_mad_co_u64_u32 v[17:18], null, s8, v37, 0
	v_dual_mov_b32 v16, v22 :: v_dual_mov_b32 v13, v24
	v_lshlrev_b64_e32 v[11:12], 3, v[11:12]
	s_delay_alu instid0(VALU_DEP_4) | instskip(SKIP_1) | instid1(VALU_DEP_4)
	v_lshlrev_b64_e32 v[9:10], 3, v[9:10]
	v_mad_co_u64_u32 v[20:21], null, s8, v26, 0
	v_mad_co_u64_u32 v[13:14], null, s9, v25, v[13:14]
	s_delay_alu instid0(VALU_DEP_4)
	v_add_co_u32 v11, vcc_lo, v33, v11
	v_lshlrev_b64_e32 v[14:15], 3, v[15:16]
	s_wait_alu 0xfffd
	v_add_co_ci_u32_e32 v12, vcc_lo, v46, v12, vcc_lo
	v_add_co_u32 v9, vcc_lo, v33, v9
	s_wait_alu 0xfffd
	v_add_co_ci_u32_e32 v10, vcc_lo, v46, v10, vcc_lo
	v_mov_b32_e32 v24, v13
	v_add_co_u32 v13, vcc_lo, v33, v14
	s_wait_alu 0xfffd
	v_add_co_ci_u32_e32 v14, vcc_lo, v46, v15, vcc_lo
	v_mov_b32_e32 v15, v18
	v_add_nc_u32_e32 v43, 0x62, v112
	s_delay_alu instid0(VALU_DEP_2) | instskip(SKIP_1) | instid1(VALU_DEP_1)
	v_mad_co_u64_u32 v[15:16], null, s9, v37, v[15:16]
	v_mov_b32_e32 v16, v21
	v_mad_co_u64_u32 v[26:27], null, s9, v26, v[16:17]
	s_delay_alu instid0(VALU_DEP_1) | instskip(SKIP_3) | instid1(VALU_DEP_2)
	v_mov_b32_e32 v21, v26
	v_mad_co_u64_u32 v[26:27], null, s8, v29, 0
	v_add_nc_u32_e32 v28, 0x46, v112
	v_lshlrev_b64_e32 v[18:19], 3, v[23:24]
	v_mad_co_u64_u32 v[24:25], null, s8, v28, 0
	s_delay_alu instid0(VALU_DEP_2) | instskip(SKIP_1) | instid1(VALU_DEP_3)
	v_add_co_u32 v22, vcc_lo, v33, v18
	s_wait_alu 0xfffd
	v_add_co_ci_u32_e32 v23, vcc_lo, v46, v19, vcc_lo
	v_mov_b32_e32 v18, v15
	s_clause 0x3
	global_load_b64 v[11:12], v[11:12], off
	global_load_b64 v[15:16], v[9:10], off
	;; [unrolled: 1-line block ×4, first 2 shown]
	v_mov_b32_e32 v19, v25
	v_lshlrev_b64_e32 v[17:18], 3, v[17:18]
	s_delay_alu instid0(VALU_DEP_2) | instskip(SKIP_2) | instid1(VALU_DEP_4)
	v_mad_co_u64_u32 v[22:23], null, s9, v28, v[19:20]
	v_lshlrev_b64_e32 v[19:20], 3, v[20:21]
	v_mov_b32_e32 v21, v27
	v_add_co_u32 v17, vcc_lo, v33, v17
	s_wait_alu 0xfffd
	v_add_co_ci_u32_e32 v18, vcc_lo, v46, v18, vcc_lo
	v_mov_b32_e32 v25, v22
	v_mad_co_u64_u32 v[22:23], null, s8, v30, 0
	v_add_co_u32 v19, vcc_lo, v33, v19
	s_wait_alu 0xfffd
	v_add_co_ci_u32_e32 v20, vcc_lo, v46, v20, vcc_lo
	s_delay_alu instid0(VALU_DEP_3) | instskip(NEXT) | instid1(VALU_DEP_4)
	v_mad_co_u64_u32 v[27:28], null, s9, v29, v[21:22]
	v_mov_b32_e32 v21, v23
	v_lshlrev_b64_e32 v[23:24], 3, v[24:25]
	s_delay_alu instid0(VALU_DEP_2) | instskip(SKIP_2) | instid1(VALU_DEP_4)
	v_mad_co_u64_u32 v[30:31], null, s9, v30, v[21:22]
	v_mad_co_u64_u32 v[31:32], null, s8, v43, 0
	v_add_nc_u32_e32 v38, 0xc4, v112
	v_add_co_u32 v41, vcc_lo, v33, v23
	s_wait_alu 0xfffd
	v_add_co_ci_u32_e32 v42, vcc_lo, v46, v24, vcc_lo
	s_delay_alu instid0(VALU_DEP_3) | instskip(SKIP_2) | instid1(VALU_DEP_3)
	v_mad_co_u64_u32 v[28:29], null, s8, v38, 0
	v_lshlrev_b64_e32 v[24:25], 3, v[26:27]
	v_mov_b32_e32 v23, v30
	v_mov_b32_e32 v21, v29
	s_delay_alu instid0(VALU_DEP_1) | instskip(SKIP_1) | instid1(VALU_DEP_1)
	v_mad_co_u64_u32 v[38:39], null, s9, v38, v[21:22]
	v_mov_b32_e32 v21, v32
	v_mad_co_u64_u32 v[26:27], null, s9, v43, v[21:22]
	v_add_nc_u32_e32 v45, 0xd2, v112
	v_lshlrev_b64_e32 v[22:23], 3, v[22:23]
	v_add_co_u32 v43, vcc_lo, v33, v24
	v_mov_b32_e32 v29, v38
	s_wait_alu 0xfffd
	v_add_co_ci_u32_e32 v44, vcc_lo, v46, v25, vcc_lo
	v_mov_b32_e32 v32, v26
	v_mad_co_u64_u32 v[39:40], null, s8, v45, 0
	v_lshlrev_b64_e32 v[27:28], 3, v[28:29]
	s_delay_alu instid0(VALU_DEP_2) | instskip(NEXT) | instid1(VALU_DEP_1)
	v_mov_b32_e32 v21, v40
	v_mad_co_u64_u32 v[24:25], null, s9, v45, v[21:22]
	v_add_co_u32 v21, vcc_lo, v33, v22
	s_wait_alu 0xfffd
	v_add_co_ci_u32_e32 v22, vcc_lo, v46, v23, vcc_lo
	v_lshlrev_b64_e32 v[25:26], 3, v[31:32]
	v_add_co_u32 v23, vcc_lo, v33, v27
	v_mov_b32_e32 v40, v24
	s_wait_alu 0xfffd
	v_add_co_ci_u32_e32 v24, vcc_lo, v46, v28, vcc_lo
	s_delay_alu instid0(VALU_DEP_4) | instskip(NEXT) | instid1(VALU_DEP_3)
	v_add_co_u32 v38, vcc_lo, v33, v25
	v_lshlrev_b64_e32 v[27:28], 3, v[39:40]
	s_wait_alu 0xfffd
	v_add_co_ci_u32_e32 v39, vcc_lo, v46, v26, vcc_lo
	s_delay_alu instid0(VALU_DEP_2) | instskip(SKIP_1) | instid1(VALU_DEP_3)
	v_add_co_u32 v45, vcc_lo, v33, v27
	s_wait_alu 0xfffd
	v_add_co_ci_u32_e32 v46, vcc_lo, v46, v28, vcc_lo
	s_clause 0x7
	global_load_b64 v[27:28], v[17:18], off
	global_load_b64 v[31:32], v[19:20], off
	;; [unrolled: 1-line block ×8, first 2 shown]
	v_dual_mov_b32 v38, v37 :: v_dual_mov_b32 v33, v36
.LBB0_9:
	s_or_b32 exec_lo, exec_lo, s2
.LBB0_10:
	s_wait_loadcnt 0xc
	v_dual_sub_f32 v34, v3, v1 :: v_dual_sub_f32 v35, v4, v2
	v_dual_sub_f32 v7, v5, v7 :: v_dual_sub_f32 v8, v6, v8
	v_lshlrev_b32_e32 v1, 3, v114
	s_delay_alu instid0(VALU_DEP_3) | instskip(NEXT) | instid1(VALU_DEP_4)
	v_fma_f32 v2, v3, 2.0, -v34
	v_fma_f32 v3, v4, 2.0, -v35
	v_mul_u32_u24_e32 v4, 0x120, v112
	v_mul_i32_i24_e32 v36, 0x120, v63
	s_wait_loadcnt 0xa
	v_dual_sub_f32 v15, v11, v15 :: v_dual_sub_f32 v16, v12, v16
	v_mul_i32_i24_e32 v37, 0x120, v113
	s_wait_loadcnt 0x8
	v_dual_sub_f32 v13, v9, v13 :: v_dual_sub_f32 v14, v10, v14
	v_mul_i32_i24_e32 v39, 0x120, v33
	v_fma_f32 v5, v5, 2.0, -v7
	v_fma_f32 v6, v6, 2.0, -v8
	v_add3_u32 v4, 0, v4, v1
	v_add3_u32 v36, 0, v36, v1
	v_fma_f32 v11, v11, 2.0, -v15
	v_fma_f32 v12, v12, 2.0, -v16
	v_add3_u32 v37, 0, v37, v1
	v_fma_f32 v9, v9, 2.0, -v13
	v_fma_f32 v10, v10, 2.0, -v14
	v_add3_u32 v39, 0, v39, v1
	s_wait_loadcnt 0x6
	v_dual_sub_f32 v31, v27, v31 :: v_dual_sub_f32 v32, v28, v32
	ds_store_2addr_b64 v4, v[5:6], v[7:8] offset1:18
	v_mul_i32_i24_e32 v5, 0x120, v38
	ds_store_2addr_b64 v36, v[2:3], v[34:35] offset1:18
	ds_store_2addr_b64 v37, v[11:12], v[15:16] offset1:18
	;; [unrolled: 1-line block ×3, first 2 shown]
	s_wait_loadcnt 0x4
	v_dual_sub_f32 v29, v25, v29 :: v_dual_and_b32 v2, 1, v112
	s_wait_loadcnt 0x2
	v_dual_sub_f32 v30, v26, v30 :: v_dual_sub_f32 v23, v19, v23
	s_wait_loadcnt 0x0
	v_dual_sub_f32 v24, v20, v24 :: v_dual_sub_f32 v21, v17, v21
	v_sub_f32_e32 v22, v18, v22
	v_fma_f32 v27, v27, 2.0, -v31
	v_fma_f32 v28, v28, 2.0, -v32
	v_add3_u32 v10, 0, v5, v1
	v_mul_u32_u24_e32 v6, 3, v2
	v_fma_f32 v25, v25, 2.0, -v29
	v_fma_f32 v26, v26, 2.0, -v30
	v_add_nc_u32_e32 v3, 0x4800, v4
	v_fma_f32 v19, v19, 2.0, -v23
	v_fma_f32 v20, v20, 2.0, -v24
	v_add_nc_u32_e32 v5, 0x5800, v4
	v_fma_f32 v17, v17, 2.0, -v21
	v_fma_f32 v18, v18, 2.0, -v22
	v_add_nc_u32_e32 v4, 0x6800, v4
	ds_store_2addr_b64 v10, v[27:28], v[31:32] offset1:18
	ds_store_2addr_b64 v3, v[25:26], v[29:30] offset0:216 offset1:234
	ds_store_2addr_b64 v5, v[19:20], v[23:24] offset0:208 offset1:226
	;; [unrolled: 1-line block ×3, first 2 shown]
	v_lshlrev_b32_e32 v3, 3, v6
	global_wb scope:SCOPE_SE
	s_wait_dscnt 0x0
	s_barrier_signal -1
	s_barrier_wait -1
	global_inv scope:SCOPE_SE
	s_clause 0x1
	global_load_b128 v[6:9], v3, s[14:15]
	global_load_b64 v[30:31], v3, s[14:15] offset:16
	v_mad_i32_i24 v56, 0xffffff70, v38, v10
	v_mul_u32_u24_e32 v3, 0x90, v112
	v_mul_i32_i24_e32 v4, 0x90, v63
	v_mul_i32_i24_e32 v11, 0x90, v113
	;; [unrolled: 1-line block ×3, first 2 shown]
	ds_load_b64 v[34:35], v56
	v_lshlrev_b32_e32 v32, 2, v112
	v_lshlrev_b32_e32 v50, 2, v63
	;; [unrolled: 1-line block ×3, first 2 shown]
	v_and_b32_e32 v53, 7, v112
	v_cmp_gt_u32_e64 s2, 0x48, v0
	s_mov_b32 s16, 0
	s_delay_alu instid0(VALU_DEP_2) | instskip(SKIP_1) | instid1(VALU_DEP_1)
	v_mul_u32_u24_e32 v14, 3, v53
	s_wait_loadcnt_dscnt 0x100
	v_dual_mul_f32 v66, v7, v35 :: v_dual_lshlrev_b32 v65, 3, v14
	v_add3_u32 v3, 0, v3, v1
	v_add3_u32 v5, 0, v4, v1
	;; [unrolled: 1-line block ×4, first 2 shown]
	v_mul_f32_e32 v67, v7, v34
	v_and_or_b32 v11, v32, 56, v2
	v_and_or_b32 v12, 0x7ff8, v50, v2
	;; [unrolled: 1-line block ×3, first 2 shown]
	v_add_nc_u32_e32 v10, 0x3f00, v3
	v_add_nc_u32_e32 v57, 0x5e80, v3
	;; [unrolled: 1-line block ×6, first 2 shown]
	v_mul_u32_u24_e32 v47, 0x90, v11
	v_mul_u32_u24_e32 v48, 0x90, v12
	;; [unrolled: 1-line block ×3, first 2 shown]
	ds_load_2addr_b64 v[10:13], v10 offset1:252
	ds_load_b64 v[36:37], v3
	ds_load_2addr_b64 v[14:17], v57 offset1:252
	ds_load_b64 v[38:39], v5
	ds_load_2addr_b32 v[40:41], v60 offset0:216 offset1:217
	ds_load_b64 v[42:43], v4
	ds_load_2addr_b64 v[18:21], v18 offset1:252
	ds_load_2addr_b64 v[22:25], v59 offset1:252
	;; [unrolled: 1-line block ×3, first 2 shown]
	ds_load_b64 v[44:45], v58
	v_lshlrev_b32_e32 v52, 2, v33
	v_and_b32_e32 v54, 7, v63
	v_and_b32_e32 v55, 7, v113
	v_fma_f32 v34, v6, v34, -v66
	v_add3_u32 v47, 0, v47, v1
	v_add3_u32 v48, 0, v48, v1
	;; [unrolled: 1-line block ×3, first 2 shown]
	global_wb scope:SCOPE_SE
	s_wait_loadcnt_dscnt 0x0
	s_barrier_signal -1
	s_barrier_wait -1
	v_mul_f32_e32 v69, v9, v10
	v_mul_f32_e32 v74, v13, v9
	;; [unrolled: 1-line block ×3, first 2 shown]
	v_dual_mul_f32 v71, v31, v14 :: v_dual_mul_f32 v72, v41, v7
	v_mul_f32_e32 v73, v7, v40
	v_dual_mul_f32 v78, v19, v7 :: v_dual_mul_f32 v75, v12, v9
	v_mul_f32_e32 v76, v17, v31
	;; [unrolled: 2-line block ×4, first 2 shown]
	v_fmac_f32_e32 v69, v8, v11
	v_fma_f32 v11, v30, v14, -v70
	v_fmac_f32_e32 v71, v30, v15
	v_fma_f32 v14, v6, v40, -v72
	;; [unrolled: 2-line block ×4, first 2 shown]
	v_fmac_f32_e32 v77, v17, v30
	v_mul_f32_e32 v79, v18, v7
	v_mul_f32_e32 v84, v21, v7
	v_fma_f32 v15, v18, v6, -v78
	v_fma_f32 v16, v22, v8, -v80
	v_mul_f32_e32 v85, v20, v7
	v_mul_f32_e32 v7, v25, v9
	;; [unrolled: 1-line block ×3, first 2 shown]
	v_fma_f32 v17, v26, v30, -v82
	v_mul_u32_u24_e32 v46, 3, v54
	v_fma_f32 v10, v8, v10, -v68
	v_fmac_f32_e32 v81, v23, v8
	v_fmac_f32_e32 v85, v21, v6
	v_dual_sub_f32 v21, v38, v12 :: v_dual_sub_f32 v12, v73, v77
	v_fmac_f32_e32 v67, v6, v35
	v_fmac_f32_e32 v79, v19, v6
	v_fma_f32 v18, v20, v6, -v84
	v_fma_f32 v6, v24, v8, -v7
	v_fmac_f32_e32 v9, v25, v8
	v_fma_f32 v7, v28, v30, -v86
	v_sub_f32_e32 v20, v37, v69
	v_sub_f32_e32 v8, v34, v11
	v_sub_f32_e32 v11, v14, v13
	v_dual_sub_f32 v24, v42, v16 :: v_dual_sub_f32 v13, v15, v17
	v_mul_f32_e32 v83, v26, v31
	v_sub_f32_e32 v17, v18, v7
	v_fma_f32 v26, v34, 2.0, -v8
	v_add_f32_e32 v7, v20, v8
	v_fma_f32 v34, v38, 2.0, -v21
	v_sub_f32_e32 v8, v21, v12
	v_fma_f32 v38, v42, 2.0, -v24
	v_fma_f32 v40, v15, 2.0, -v13
	v_dual_sub_f32 v19, v36, v10 :: v_dual_sub_f32 v10, v67, v71
	v_mul_f32_e32 v31, v28, v31
	v_sub_f32_e32 v28, v44, v6
	v_sub_f32_e32 v22, v39, v75
	v_and_or_b32 v2, 0x7ff8, v52, v2
	v_sub_f32_e32 v6, v19, v10
	v_fmac_f32_e32 v31, v29, v30
	v_fma_f32 v42, v44, 2.0, -v28
	v_fma_f32 v44, v18, 2.0, -v17
	v_sub_f32_e32 v25, v43, v81
	v_fma_f32 v35, v39, 2.0, -v22
	v_sub_f32_e32 v23, v85, v31
	v_fmac_f32_e32 v83, v27, v30
	v_fma_f32 v30, v36, 2.0, -v19
	v_fma_f32 v31, v37, 2.0, -v20
	;; [unrolled: 1-line block ×3, first 2 shown]
	v_sub_f32_e32 v12, v28, v23
	v_dual_sub_f32 v16, v79, v83 :: v_dual_sub_f32 v29, v45, v9
	v_fma_f32 v27, v67, 2.0, -v10
	v_fma_f32 v36, v14, 2.0, -v11
	v_add_f32_e32 v9, v22, v11
	s_delay_alu instid0(VALU_DEP_4)
	v_fma_f32 v41, v79, 2.0, -v16
	v_sub_f32_e32 v14, v30, v26
	v_sub_f32_e32 v26, v42, v44
	v_fma_f32 v39, v43, 2.0, -v25
	v_fma_f32 v43, v45, 2.0, -v29
	;; [unrolled: 1-line block ×3, first 2 shown]
	v_dual_sub_f32 v15, v31, v27 :: v_dual_sub_f32 v10, v24, v16
	v_dual_add_f32 v11, v25, v13 :: v_dual_add_nc_u32 v66, 0x3600, v3
	v_dual_add_f32 v13, v29, v17 :: v_dual_add_nc_u32 v68, 0x5a00, v3
	v_fma_f32 v17, v20, 2.0, -v7
	v_sub_f32_e32 v18, v34, v36
	v_fma_f32 v20, v21, 2.0, -v8
	v_fma_f32 v21, v22, 2.0, -v9
	v_sub_f32_e32 v22, v38, v40
	v_fma_f32 v16, v19, 2.0, -v6
	v_sub_f32_e32 v19, v35, v37
	v_sub_f32_e32 v23, v39, v41
	v_mul_u32_u24_e32 v2, 0x90, v2
	v_sub_f32_e32 v27, v43, v45
	v_fma_f32 v30, v30, 2.0, -v14
	v_fma_f32 v31, v31, 2.0, -v15
	;; [unrolled: 1-line block ×8, first 2 shown]
	global_inv scope:SCOPE_SE
	v_add3_u32 v2, 0, v2, v1
	v_fma_f32 v28, v28, 2.0, -v12
	v_fma_f32 v29, v29, 2.0, -v13
	;; [unrolled: 1-line block ×4, first 2 shown]
	ds_store_2addr_b64 v47, v[14:15], v[6:7] offset0:72 offset1:108
	ds_store_2addr_b64 v47, v[30:31], v[16:17] offset1:36
	ds_store_2addr_b64 v48, v[34:35], v[20:21] offset1:36
	ds_store_2addr_b64 v48, v[18:19], v[8:9] offset0:72 offset1:108
	ds_store_2addr_b64 v49, v[36:37], v[24:25] offset1:36
	ds_store_2addr_b64 v49, v[22:23], v[10:11] offset0:72 offset1:108
	;; [unrolled: 2-line block ×3, first 2 shown]
	v_and_b32_e32 v22, 7, v33
	v_mul_u32_u24_e32 v14, 3, v55
	v_lshlrev_b32_e32 v2, 3, v46
	global_wb scope:SCOPE_SE
	s_wait_dscnt 0x0
	s_barrier_signal -1
	v_mul_u32_u24_e32 v19, 3, v22
	v_lshlrev_b32_e32 v18, 3, v14
	s_barrier_wait -1
	global_inv scope:SCOPE_SE
	s_clause 0x4
	global_load_b128 v[6:9], v65, s[14:15] offset:48
	global_load_b64 v[42:43], v65, s[14:15] offset:64
	global_load_b128 v[10:13], v2, s[14:15] offset:48
	global_load_b64 v[44:45], v2, s[14:15] offset:64
	global_load_b128 v[14:17], v18, s[14:15] offset:48
	v_lshlrev_b32_e32 v2, 3, v19
	s_clause 0x2
	global_load_b64 v[46:47], v18, s[14:15] offset:64
	global_load_b128 v[18:21], v2, s[14:15] offset:48
	global_load_b64 v[48:49], v2, s[14:15] offset:64
	v_and_or_b32 v2, v32, 32, v53
	v_and_or_b32 v23, 0x7fe0, v50, v54
	;; [unrolled: 1-line block ×4, first 2 shown]
	v_add_nc_u32_e32 v34, 0x4400, v3
	v_mul_u32_u24_e32 v2, 0x90, v2
	v_mul_u32_u24_e32 v23, 0x90, v23
	;; [unrolled: 1-line block ×4, first 2 shown]
	v_add_nc_u32_e32 v25, 0x3720, v3
	v_add3_u32 v70, 0, v2, v1
	v_add3_u32 v71, 0, v23, v1
	;; [unrolled: 1-line block ×4, first 2 shown]
	ds_load_2addr_b32 v[1:2], v34 offset0:184 offset1:185
	v_add_nc_u32_e32 v30, 0x2760, v3
	ds_load_2addr_b64 v[22:25], v25 offset1:252
	ds_load_b64 v[50:51], v56
	ds_load_2addr_b64 v[26:29], v57 offset1:252
	v_add_nc_u32_e32 v77, 0x800, v73
	ds_load_2addr_b64 v[30:33], v30 offset1:252
	ds_load_b64 v[52:53], v3
	ds_load_b64 v[54:55], v5
	;; [unrolled: 1-line block ×3, first 2 shown]
	ds_load_2addr_b64 v[34:37], v59 offset1:252
	ds_load_2addr_b64 v[38:41], v64 offset1:252
	ds_load_b64 v[58:59], v58
	v_add_nc_u32_e32 v74, 0x800, v70
	v_add_nc_u32_e32 v76, 0x800, v72
	global_wb scope:SCOPE_SE
	s_wait_loadcnt_dscnt 0x0
	s_barrier_signal -1
	s_barrier_wait -1
	global_inv scope:SCOPE_SE
	v_mul_f32_e32 v64, v7, v51
	v_mul_f32_e32 v80, v2, v13
	v_dual_mul_f32 v65, v9, v25 :: v_dual_mul_f32 v78, v43, v27
	v_dual_mul_f32 v9, v9, v24 :: v_dual_mul_f32 v84, v39, v47
	v_mul_f32_e32 v13, v13, v1
	v_mul_f32_e32 v86, v37, v21
	;; [unrolled: 1-line block ×3, first 2 shown]
	v_fma_f32 v1, v12, v1, -v80
	v_dual_mul_f32 v82, v33, v15 :: v_dual_fmac_f32 v9, v8, v25
	v_mul_f32_e32 v83, v35, v17
	s_delay_alu instid0(VALU_DEP_4)
	v_fmac_f32_e32 v21, v37, v20
	v_mul_f32_e32 v15, v32, v15
	v_sub_f32_e32 v25, v54, v1
	v_mul_f32_e32 v7, v7, v50
	v_mul_f32_e32 v85, v23, v19
	v_mul_f32_e32 v19, v22, v19
	v_fmac_f32_e32 v15, v33, v14
	v_fma_f32 v33, v54, 2.0, -v25
	v_mul_f32_e32 v43, v43, v26
	v_mul_f32_e32 v87, v41, v49
	;; [unrolled: 1-line block ×3, first 2 shown]
	v_fma_f32 v50, v6, v50, -v64
	v_fmac_f32_e32 v7, v6, v51
	v_fma_f32 v6, v8, v24, -v65
	v_fmac_f32_e32 v43, v42, v27
	;; [unrolled: 2-line block ×3, first 2 shown]
	v_fma_f32 v18, v36, v20, -v86
	v_fma_f32 v20, v40, v48, -v87
	v_fmac_f32_e32 v49, v41, v48
	v_mul_f32_e32 v47, v38, v47
	v_dual_sub_f32 v23, v52, v6 :: v_dual_sub_f32 v6, v7, v43
	v_fmac_f32_e32 v13, v2, v12
	v_fma_f32 v12, v32, v14, -v82
	v_fma_f32 v14, v34, v16, -v83
	v_fmac_f32_e32 v47, v39, v46
	v_mul_f32_e32 v81, v29, v45
	v_mul_f32_e32 v45, v28, v45
	v_fma_f32 v8, v42, v26, -v78
	v_dual_sub_f32 v27, v56, v14 :: v_dual_sub_f32 v14, v22, v20
	v_mul_f32_e32 v79, v11, v31
	v_mul_f32_e32 v11, v11, v30
	v_fmac_f32_e32 v45, v29, v44
	v_dual_sub_f32 v24, v53, v9 :: v_dual_add_nc_u32 v67, 0x4800, v3
	s_delay_alu instid0(VALU_DEP_4) | instskip(NEXT) | instid1(VALU_DEP_4)
	v_fma_f32 v2, v10, v30, -v79
	v_fmac_f32_e32 v11, v10, v31
	v_fma_f32 v10, v28, v44, -v81
	v_dual_sub_f32 v8, v50, v8 :: v_dual_add_nc_u32 v69, 0x6c00, v3
	v_sub_f32_e32 v26, v55, v13
	s_delay_alu instid0(VALU_DEP_4) | instskip(NEXT) | instid1(VALU_DEP_4)
	v_sub_f32_e32 v9, v11, v45
	v_dual_sub_f32 v1, v2, v10 :: v_dual_sub_f32 v10, v15, v47
	v_mul_f32_e32 v17, v34, v17
	v_dual_sub_f32 v29, v58, v18 :: v_dual_sub_f32 v30, v59, v21
	v_fma_f32 v31, v52, 2.0, -v23
	v_fma_f32 v32, v53, 2.0, -v24
	s_delay_alu instid0(VALU_DEP_4) | instskip(SKIP_4) | instid1(VALU_DEP_4)
	v_fmac_f32_e32 v17, v35, v16
	v_fma_f32 v16, v38, v46, -v84
	v_add_nc_u32_e32 v75, 0x800, v71
	v_fma_f32 v18, v7, 2.0, -v6
	v_fma_f32 v34, v55, 2.0, -v26
	v_dual_sub_f32 v28, v57, v17 :: v_dual_sub_f32 v13, v12, v16
	v_sub_f32_e32 v16, v19, v49
	v_fma_f32 v17, v50, 2.0, -v8
	v_fma_f32 v20, v2, 2.0, -v1
	;; [unrolled: 1-line block ×11, first 2 shown]
	v_dual_sub_f32 v6, v23, v6 :: v_dual_add_f32 v7, v24, v8
	v_sub_f32_e32 v8, v25, v9
	v_dual_add_f32 v9, v26, v1 :: v_dual_sub_f32 v10, v27, v10
	v_add_f32_e32 v11, v28, v13
	v_dual_sub_f32 v12, v31, v17 :: v_dual_sub_f32 v13, v32, v18
	v_sub_f32_e32 v1, v29, v16
	v_dual_sub_f32 v16, v33, v20 :: v_dual_sub_f32 v17, v34, v21
	v_add_f32_e32 v2, v30, v14
	v_dual_sub_f32 v20, v35, v37 :: v_dual_sub_f32 v21, v36, v38
	v_dual_sub_f32 v64, v39, v41 :: v_dual_sub_f32 v65, v40, v42
	v_fma_f32 v14, v23, 2.0, -v6
	v_fma_f32 v15, v24, 2.0, -v7
	;; [unrolled: 1-line block ×16, first 2 shown]
	ds_store_2addr_b64 v74, v[12:13], v[6:7] offset0:32 offset1:176
	ds_store_2addr_b64 v70, v[26:27], v[14:15] offset1:144
	ds_store_2addr_b64 v71, v[28:29], v[18:19] offset1:144
	ds_store_2addr_b64 v75, v[16:17], v[8:9] offset0:32 offset1:176
	ds_store_2addr_b64 v72, v[30:31], v[22:23] offset1:144
	ds_store_2addr_b64 v76, v[20:21], v[10:11] offset0:32 offset1:176
	ds_store_2addr_b64 v73, v[32:33], v[24:25] offset1:144
	ds_store_2addr_b64 v77, v[64:65], v[1:2] offset0:32 offset1:176
	global_wb scope:SCOPE_SE
	s_wait_dscnt 0x0
	s_barrier_signal -1
	s_barrier_wait -1
	global_inv scope:SCOPE_SE
	ds_load_2addr_stride64_b64 v[13:16], v3 offset1:9
	ds_load_2addr_b64 v[17:20], v60 offset1:252
	ds_load_2addr_b64 v[37:40], v66 offset1:252
	;; [unrolled: 1-line block ×5, first 2 shown]
	ds_load_b64 v[66:67], v5
	ds_load_b64 v[68:69], v3 offset:6624
                                        ; kill: def $vgpr5 killed $sgpr0 killed $exec
                                        ; implicit-def: $vgpr8
                                        ; implicit-def: $vgpr12
	s_and_saveexec_b32 s17, s2
	s_cbranch_execz .LBB0_12
; %bb.11:
	v_add_nc_u32_e32 v9, 0x1c0, v3
	ds_load_b64 v[64:65], v4
	ds_load_2addr_stride64_b64 v[1:4], v9 offset0:16 offset1:25
	ds_load_2addr_stride64_b64 v[5:8], v9 offset0:34 offset1:43
	ds_load_2addr_stride64_b64 v[9:12], v9 offset0:52 offset1:61
.LBB0_12:
	s_wait_alu 0xfffe
	s_or_b32 exec_lo, exec_lo, s17
	v_mul_u32_u24_e32 v33, 6, v112
	v_or_b32_e32 v56, 0x60, v112
	v_or_b32_e32 v55, 64, v112
	;; [unrolled: 1-line block ×4, first 2 shown]
	v_lshlrev_b32_e32 v53, 3, v33
	v_mul_lo_u32 v85, v61, v56
	s_load_b64 s[0:1], s[0:1], 0x8
	v_mul_lo_u32 v82, v61, v112
	v_mul_lo_u32 v84, v61, v55
	global_load_b128 v[49:52], v53, s[14:15] offset:256
	v_and_b32_e32 v110, 31, v63
	v_mul_lo_u32 v87, v61, v71
	v_mul_lo_u32 v115, v61, v72
	v_lshrrev_b32_e32 v79, 5, v85
	v_or_b32_e32 v70, 0x80, v112
	v_and_b32_e32 v73, 0xff, v82
	v_lshrrev_b32_e32 v74, 5, v82
	v_lshrrev_b32_e32 v77, 5, v84
	v_and_b32_e32 v79, 0x7f8, v79
	v_lshrrev_b32_e32 v89, 5, v87
	v_lshrrev_b32_e32 v100, 5, v115
	v_mul_lo_u32 v86, v61, v70
	v_lshrrev_b32_e32 v82, 13, v82
	s_and_not1_b32 vcc_lo, exec_lo, s3
	s_delay_alu instid0(VALU_DEP_1) | instskip(NEXT) | instid1(VALU_DEP_3)
	v_and_b32_e32 v82, 0x7f8, v82
	v_lshrrev_b32_e32 v81, 5, v86
	s_wait_loadcnt_dscnt 0x4
	v_mul_f32_e32 v127, v52, v30
	v_mul_u32_u24_e32 v33, 6, v110
	v_mul_f32_e32 v126, v50, v38
	v_mul_lo_u32 v116, v61, v110
	v_or_b32_e32 v111, 32, v110
	v_or_b32_e32 v118, 0x60, v110
	v_lshlrev_b32_e32 v54, 3, v33
	v_mul_f32_e32 v50, v50, v37
	v_mul_f32_e32 v52, v52, v29
	v_mul_lo_u32 v120, v61, v111
	s_clause 0x3
	global_load_b128 v[45:48], v54, s[14:15] offset:256
	global_load_b128 v[41:44], v53, s[14:15] offset:272
	;; [unrolled: 1-line block ×4, first 2 shown]
	v_or_b32_e32 v53, 32, v112
	v_and_b32_e32 v92, 0xff, v115
	v_lshrrev_b32_e32 v115, 13, v115
	v_lshrrev_b32_e32 v121, 5, v116
	v_mul_lo_u32 v111, v61, v118
	v_mul_lo_u32 v83, v61, v53
	v_lshlrev_b32_e32 v70, 3, v73
	v_dual_fmac_f32 v50, v49, v38 :: v_dual_and_b32 v77, 0x7f8, v77
	v_dual_fmac_f32 v52, v51, v30 :: v_dual_and_b32 v89, 0x7f8, v89
	v_and_b32_e32 v115, 0x7f8, v115
	v_and_b32_e32 v121, 0x7f8, v121
	;; [unrolled: 1-line block ×3, first 2 shown]
	v_fma_f32 v126, v49, v37, -v126
	v_fma_f32 v49, v51, v29, -v127
	v_lshrrev_b32_e32 v75, 5, v83
	v_and_b32_e32 v76, 0xff, v84
	v_and_b32_e32 v78, 0xff, v85
	v_and_b32_e32 v80, 0xff, v86
	v_and_b32_e32 v88, 0xff, v87
	v_and_b32_e32 v100, 0x7f8, v100
	v_lshrrev_b32_e32 v84, 13, v84
	v_lshrrev_b32_e32 v86, 13, v86
	v_lshlrev_b32_e32 v94, 3, v80
	v_lshlrev_b32_e32 v88, 3, v88
	v_or_b32_e32 v117, 64, v110
	v_lshrrev_b32_e32 v123, 5, v120
	v_lshrrev_b32_e32 v120, 13, v120
	v_or_b32_e32 v119, 0x80, v110
	s_delay_alu instid0(VALU_DEP_4) | instskip(NEXT) | instid1(VALU_DEP_2)
	v_mul_lo_u32 v117, v61, v117
	v_mul_lo_u32 v119, v61, v119
	s_delay_alu instid0(VALU_DEP_2) | instskip(NEXT) | instid1(VALU_DEP_2)
	v_lshrrev_b32_e32 v125, 5, v117
	v_and_b32_e32 v128, 0xff, v119
	v_lshrrev_b32_e32 v129, 5, v119
	s_wait_loadcnt 0x3
	v_mul_f32_e32 v29, v40, v46
	v_mul_f32_e32 v51, v39, v46
	v_and_b32_e32 v72, 0x7f8, v74
	v_and_b32_e32 v74, 0xff, v83
	v_mul_f32_e32 v30, v32, v48
	v_mul_f32_e32 v48, v31, v48
	v_lshlrev_b32_e32 v101, 3, v92
	v_fma_f32 v127, v39, v45, -v29
	v_dual_fmac_f32 v51, v40, v45 :: v_dual_lshlrev_b32 v74, 3, v74
	v_lshrrev_b32_e32 v45, 5, v111
	v_fma_f32 v130, v31, v47, -v30
	v_dual_fmac_f32 v48, v32, v47 :: v_dual_lshlrev_b32 v47, 3, v122
	s_wait_loadcnt_dscnt 0x203
	v_mul_f32_e32 v122, v42, v25
	global_load_b128 v[53:56], v54, s[14:15] offset:240
	v_and_b32_e32 v90, 0x7f8, v75
	s_wait_kmcnt 0x0
	s_clause 0x1
	global_load_b64 v[70:71], v70, s[0:1]
	global_load_b64 v[72:73], v72, s[0:1] offset:2048
	v_lshlrev_b32_e32 v76, 3, v76
	v_lshlrev_b32_e32 v78, 3, v78
	v_dual_fmac_f32 v122, v41, v26 :: v_dual_and_b32 v45, 0x7f8, v45
	v_and_b32_e32 v98, 0x7f8, v81
	s_clause 0xc
	global_load_b64 v[74:75], v74, s[0:1]
	global_load_b64 v[80:81], v90, s[0:1] offset:2048
	global_load_b64 v[90:91], v76, s[0:1]
	global_load_b64 v[96:97], v77, s[0:1] offset:2048
	;; [unrolled: 2-line block ×6, first 2 shown]
	global_load_b64 v[104:105], v82, s[0:1] offset:4096
	v_lshrrev_b32_e32 v82, 13, v83
	v_lshrrev_b32_e32 v83, 13, v85
	v_and_b32_e32 v88, 0x7f8, v84
	v_and_b32_e32 v86, 0x7f8, v86
	v_lshrrev_b32_e32 v100, 13, v87
	v_and_b32_e32 v82, 0x7f8, v82
	v_and_b32_e32 v85, 0x7f8, v83
	s_clause 0x3
	global_load_b64 v[82:83], v82, s[0:1] offset:4096
	global_load_b64 v[84:85], v85, s[0:1] offset:4096
	;; [unrolled: 1-line block ×4, first 2 shown]
	v_and_b32_e32 v100, 0x7f8, v100
	v_and_b32_e32 v118, 0xff, v116
	v_lshrrev_b32_e32 v116, 13, v116
	v_and_b32_e32 v124, 0xff, v117
	v_lshrrev_b32_e32 v117, 13, v117
	global_load_b64 v[100:101], v100, s[0:1] offset:4096
	v_lshlrev_b32_e32 v118, 3, v118
	v_and_b32_e32 v116, 0x7f8, v116
	s_clause 0x3
	global_load_b64 v[31:32], v115, s[0:1] offset:4096
	global_load_b64 v[37:38], v118, s[0:1]
	global_load_b64 v[39:40], v121, s[0:1] offset:2048
	global_load_b64 v[29:30], v116, s[0:1] offset:4096
	v_and_b32_e32 v115, 0x7f8, v123
	v_mul_f32_e32 v121, v42, v26
	s_wait_dscnt 0x2
	v_mul_f32_e32 v42, v44, v22
	v_dual_mul_f32 v123, v44, v21 :: v_dual_and_b32 v46, 0xff, v111
	v_and_b32_e32 v116, 0x7f8, v120
	v_lshlrev_b32_e32 v118, 3, v124
	v_and_b32_e32 v120, 0x7f8, v125
	v_and_b32_e32 v44, 0x7f8, v117
	v_fma_f32 v117, v41, v25, -v121
	v_fma_f32 v121, v43, v21, -v42
	v_fmac_f32_e32 v123, v43, v22
	s_wait_loadcnt 0x1a
	v_mul_f32_e32 v124, v27, v34
	s_clause 0x1
	global_load_b64 v[21:22], v47, s[0:1]
	global_load_b64 v[25:26], v115, s[0:1] offset:2048
	v_mul_f32_e32 v115, v23, v36
	s_wait_loadcnt 0x1b
	v_mul_f32_e32 v125, v58, v16
	v_dual_mul_f32 v58, v58, v15 :: v_dual_mul_f32 v41, v28, v34
	v_dual_fmac_f32 v124, v28, v33 :: v_dual_lshlrev_b32 v43, 3, v46
	v_fmac_f32_e32 v115, v24, v35
	s_delay_alu instid0(VALU_DEP_4) | instskip(NEXT) | instid1(VALU_DEP_4)
	v_fma_f32 v15, v57, v15, -v125
	v_fmac_f32_e32 v58, v57, v16
	v_or_b32_e32 v16, 0xa0, v110
	v_or_b32_e32 v57, 0xc0, v110
	v_lshrrev_b32_e32 v110, 13, v111
	v_mul_f32_e32 v46, v24, v36
	v_fma_f32 v47, v27, v33, -v41
	s_clause 0x2
	global_load_b64 v[27:28], v116, s[0:1] offset:4096
	global_load_b64 v[33:34], v118, s[0:1]
	global_load_b64 v[41:42], v120, s[0:1] offset:2048
	v_lshrrev_b32_e32 v111, 13, v119
	v_fma_f32 v120, v23, v35, -v46
	s_clause 0x2
	global_load_b64 v[23:24], v44, s[0:1] offset:4096
	global_load_b64 v[35:36], v43, s[0:1]
	global_load_b64 v[43:44], v45, s[0:1] offset:2048
	v_mul_f32_e32 v46, v60, v18
	v_mul_f32_e32 v60, v60, v17
	v_lshlrev_b32_e32 v116, 3, v128
	v_and_b32_e32 v111, 0x7f8, v111
	v_mul_lo_u32 v16, v61, v16
	v_fma_f32 v128, v59, v17, -v46
	v_fmac_f32_e32 v60, v59, v18
	v_mul_lo_u32 v57, v61, v57
	s_delay_alu instid0(VALU_DEP_2)
	v_add_f32_e32 v119, v60, v122
	v_sub_f32_e32 v60, v60, v122
	v_and_b32_e32 v118, 0x7f8, v129
	s_clause 0x1
	global_load_b64 v[17:18], v116, s[0:1]
	global_load_b64 v[45:46], v118, s[0:1] offset:2048
	v_add_f32_e32 v116, v58, v123
	v_sub_f32_e32 v58, v58, v123
	v_dual_add_f32 v123, v50, v52 :: v_dual_sub_f32 v50, v52, v50
	v_add_f32_e32 v118, v128, v117
	v_sub_f32_e32 v117, v128, v117
	s_wait_loadcnt 0x1e
	v_dual_mul_f32 v59, v56, v20 :: v_dual_mul_f32 v52, v75, v81
	v_mul_f32_e32 v81, v74, v81
	s_wait_loadcnt 0x1c
	v_mul_f32_e32 v122, v91, v97
	s_delay_alu instid0(VALU_DEP_3) | instskip(NEXT) | instid1(VALU_DEP_3)
	v_fma_f32 v52, v74, v80, -v52
	v_fmac_f32_e32 v81, v75, v80
	s_wait_loadcnt 0x16
	v_mul_f32_e32 v75, v77, v79
	v_mul_f32_e32 v79, v76, v79
	;; [unrolled: 1-line block ×3, first 2 shown]
	v_fma_f32 v19, v55, v19, -v59
	s_wait_dscnt 0x0
	v_dual_mul_f32 v110, v54, v69 :: v_dual_and_b32 v59, 0x7f8, v110
	v_mul_f32_e32 v54, v54, v68
	v_mul_f32_e32 v74, v94, v99
	s_wait_loadcnt 0x14
	v_dual_mul_f32 v80, v107, v109 :: v_dual_fmac_f32 v79, v77, v78
	v_fma_f32 v68, v53, v68, -v110
	v_fmac_f32_e32 v54, v53, v69
	v_mul_f32_e32 v53, v71, v73
	v_mul_f32_e32 v69, v70, v73
	v_add_f32_e32 v73, v15, v121
	v_sub_f32_e32 v15, v15, v121
	v_add_f32_e32 v121, v126, v49
	v_fma_f32 v53, v70, v72, -v53
	v_dual_mul_f32 v70, v90, v97 :: v_dual_sub_f32 v49, v49, v126
	v_fmac_f32_e32 v69, v71, v72
	v_mul_f32_e32 v71, v93, v103
	v_mul_f32_e32 v97, v95, v99
	v_fma_f32 v90, v90, v96, -v122
	v_mul_f32_e32 v99, v106, v109
	v_sub_f32_e32 v109, v123, v119
	v_mul_f32_e32 v72, v92, v103
	v_sub_f32_e32 v122, v130, v127
	v_dual_fmac_f32 v70, v91, v96 :: v_dual_add_f32 v91, v118, v73
	v_fmac_f32_e32 v56, v55, v20
	v_and_b32_e32 v20, 0xff, v16
	v_fma_f32 v71, v92, v102, -v71
	v_fma_f32 v94, v94, v98, -v97
	v_sub_f32_e32 v97, v117, v15
	v_fmac_f32_e32 v99, v107, v108
	v_add_f32_e32 v96, v119, v116
	v_dual_sub_f32 v92, v119, v116 :: v_dual_sub_f32 v119, v49, v117
	v_dual_mul_f32 v107, 0x3d64c772, v109 :: v_dual_fmac_f32 v72, v93, v102
	v_dual_sub_f32 v93, v116, v123 :: v_dual_add_f32 v116, v49, v117
	v_add_f32_e32 v117, v54, v115
	v_sub_f32_e32 v54, v54, v115
	v_add_f32_e32 v115, v19, v47
	v_sub_f32_e32 v19, v19, v47
	v_add_f32_e32 v47, v56, v124
	v_dual_sub_f32 v49, v15, v49 :: v_dual_sub_f32 v56, v56, v124
	v_add_f32_e32 v124, v51, v48
	v_sub_f32_e32 v48, v48, v51
	v_fma_f32 v51, v76, v78, -v75
	v_add_f32_e32 v75, v121, v91
	s_wait_loadcnt 0x13
	v_mul_f32_e32 v77, v69, v105
	v_mul_f32_e32 v91, 0xbf08b237, v119
	v_sub_f32_e32 v119, v47, v117
	v_dual_fmac_f32 v74, v95, v98 :: v_dual_sub_f32 v95, v50, v60
	v_sub_f32_e32 v103, v118, v73
	v_sub_f32_e32 v73, v73, v121
	v_mul_f32_e32 v78, v53, v105
	v_fma_f32 v53, v104, v53, -v77
	s_wait_loadcnt 0x10
	v_dual_mul_f32 v77, v90, v89 :: v_dual_add_f32 v98, v68, v120
	v_sub_f32_e32 v68, v68, v120
	v_dual_sub_f32 v102, v121, v118 :: v_dual_add_f32 v121, v122, v19
	v_dual_add_f32 v120, v127, v130 :: v_dual_mul_f32 v127, v81, v83
	v_dual_mul_f32 v83, v52, v83 :: v_dual_lshlrev_b32 v20, 3, v20
	v_dual_add_f32 v15, v116, v15 :: v_dual_add_f32 v116, v47, v117
	v_sub_f32_e32 v47, v124, v47
	v_fma_f32 v106, v106, v108, -v80
	v_dual_mul_f32 v80, 0x3f4a47b2, v93 :: v_dual_fmac_f32 v77, v88, v70
	v_mul_f32_e32 v93, 0xbf08b237, v95
	v_dual_mul_f32 v95, 0x3f5ff5aa, v97 :: v_dual_add_f32 v118, v50, v60
	v_add_f32_e32 v13, v75, v13
	v_dual_mul_f32 v73, 0x3f4a47b2, v73 :: v_dual_sub_f32 v60, v60, v58
	v_dual_sub_f32 v125, v122, v19 :: v_dual_add_f32 v76, v123, v96
	v_mul_f32_e32 v128, v70, v89
	v_mul_f32_e32 v89, v71, v85
	v_fma_f32 v95, 0xbeae86e6, v49, -v95
	v_dual_fmamk_f32 v49, v49, 0x3eae86e6, v91 :: v_dual_fmac_f32 v78, v104, v69
	v_fma_f32 v91, 0x3f5ff5aa, v97, -v91
	v_mul_f32_e32 v97, 0x3d64c772, v47
	v_fmac_f32_e32 v83, v82, v81
	v_dual_add_f32 v123, v48, v56 :: v_dual_sub_f32 v50, v58, v50
	v_dual_mul_f32 v69, v72, v85 :: v_dual_add_f32 v58, v118, v58
	v_fmac_f32_e32 v89, v84, v72
	s_wait_loadcnt 0xf
	v_dual_mul_f32 v85, v74, v87 :: v_dual_sub_f32 v118, v115, v98
	v_fmac_f32_e32 v49, 0x3ee1c552, v15
	v_dual_mul_f32 v87, v94, v87 :: v_dual_mul_f32 v96, 0x3f5ff5aa, v60
	v_sub_f32_e32 v19, v19, v68
	v_dual_mul_f32 v105, 0x3d64c772, v102 :: v_dual_fmamk_f32 v102, v102, 0x3d64c772, v73
	v_fmamk_f32 v72, v75, 0xbf955555, v13
	v_add_f32_e32 v14, v76, v14
	v_sub_f32_e32 v126, v48, v56
	v_fma_f32 v73, 0xbf3bfb3b, v103, -v73
	v_fma_f32 v69, v84, v71, -v69
	;; [unrolled: 1-line block ×3, first 2 shown]
	v_mul_f32_e32 v85, v13, v78
	v_fmac_f32_e32 v87, v86, v74
	v_fma_f32 v96, 0xbeae86e6, v50, -v96
	v_dual_add_f32 v75, v102, v72 :: v_dual_fmamk_f32 v104, v109, 0x3d64c772, v80
	s_delay_alu instid0(VALU_DEP_4)
	v_fmac_f32_e32 v85, v14, v53
	v_fma_f32 v80, 0xbf3bfb3b, v92, -v80
	v_fmamk_f32 v71, v76, 0xbf955555, v14
	v_fma_f32 v103, 0x3f3bfb3b, v103, -v105
	s_wait_loadcnt 0xe
	v_mul_f32_e32 v105, v79, v101
	v_mul_f32_e32 v101, v51, v101
	v_add_f32_e32 v108, v115, v98
	v_dual_sub_f32 v122, v68, v122 :: v_dual_fmac_f32 v91, 0x3ee1c552, v15
	v_add_f32_e32 v109, v121, v68
	v_dual_sub_f32 v98, v98, v120 :: v_dual_fmac_f32 v95, 0x3ee1c552, v15
	v_dual_sub_f32 v115, v120, v115 :: v_dual_mul_f32 v74, v14, v78
	v_add_f32_e32 v76, v80, v71
	v_fmac_f32_e32 v96, 0x3ee1c552, v58
	v_add_f32_e32 v78, v73, v72
	v_fmamk_f32 v50, v50, 0x3eae86e6, v93
	v_fma_f32 v60, 0x3f5ff5aa, v60, -v93
	v_lshrrev_b32_e32 v55, 5, v16
	v_fma_f32 v92, 0x3f3bfb3b, v92, -v107
	v_dual_add_f32 v73, v96, v78 :: v_dual_mul_f32 v68, 0x3d64c772, v115
	v_fma_f32 v52, v82, v52, -v127
	v_fmac_f32_e32 v50, 0x3ee1c552, v58
	s_delay_alu instid0(VALU_DEP_3) | instskip(NEXT) | instid1(VALU_DEP_4)
	v_dual_fmac_f32 v60, 0x3ee1c552, v58 :: v_dual_mul_f32 v81, v73, v77
	v_fma_f32 v58, 0x3f3bfb3b, v118, -v68
	v_lshrrev_b32_e32 v16, 13, v16
	v_dual_add_f32 v68, v104, v71 :: v_dual_sub_f32 v117, v117, v124
	v_fma_f32 v84, v13, v53, -v74
	v_add_f32_e32 v14, v92, v71
	v_add_f32_e32 v71, v50, v75
	s_delay_alu instid0(VALU_DEP_4) | instskip(SKIP_3) | instid1(VALU_DEP_4)
	v_dual_sub_f32 v53, v68, v49 :: v_dual_sub_f32 v48, v54, v48
	v_dual_mul_f32 v93, 0x3f4a47b2, v117 :: v_dual_sub_f32 v56, v56, v54
	v_fmac_f32_e32 v101, v100, v79
	v_add_f32_e32 v107, v120, v108
	v_dual_add_f32 v108, v124, v116 :: v_dual_mul_f32 v79, v53, v83
	v_mul_f32_e32 v83, v71, v83
	v_add_f32_e32 v49, v49, v68
	v_add_f32_e32 v13, v103, v72
	;; [unrolled: 1-line block ×3, first 2 shown]
	s_delay_alu instid0(VALU_DEP_4) | instskip(NEXT) | instid1(VALU_DEP_3)
	v_dual_mul_f32 v54, 0x3f4a47b2, v98 :: v_dual_fmac_f32 v83, v53, v52
	v_dual_mul_f32 v53, 0xbf08b237, v125 :: v_dual_sub_f32 v74, v13, v60
	v_sub_f32_e32 v50, v75, v50
	s_delay_alu instid0(VALU_DEP_3) | instskip(SKIP_1) | instid1(VALU_DEP_4)
	v_fmamk_f32 v15, v115, 0x3d64c772, v54
	v_fma_f32 v90, v88, v90, -v128
	v_fmamk_f32 v115, v122, 0x3eae86e6, v53
	v_mul_f32_e32 v75, v74, v89
	v_dual_add_f32 v13, v60, v13 :: v_dual_add_f32 v60, v91, v14
	v_sub_f32_e32 v14, v14, v91
	v_sub_f32_e32 v72, v76, v95
	v_fma_f32 v54, 0xbf3bfb3b, v118, -v54
	global_load_b64 v[110:111], v111, s[0:1] offset:4096
	v_add_f32_e32 v94, v108, v67
	v_fma_f32 v51, v100, v51, -v105
	v_dual_mul_f32 v80, v72, v77 :: v_dual_mul_f32 v77, v13, v87
	v_fmamk_f32 v47, v47, 0x3d64c772, v93
	v_fma_f32 v82, v71, v52, -v79
	v_add_f32_e32 v71, v95, v76
	s_delay_alu instid0(VALU_DEP_4)
	v_fma_f32 v80, v73, v90, -v80
	v_fmac_f32_e32 v77, v14, v70
	v_fmac_f32_e32 v81, v72, v90
	global_load_b64 v[72:73], v59, s[0:1] offset:4096
	v_mul_f32_e32 v59, 0xbf08b237, v126
	v_dual_add_f32 v88, v107, v66 :: v_dual_and_b32 v79, 0xff, v57
	v_fma_f32 v66, 0x3f3bfb3b, v119, -v97
	v_and_b32_e32 v55, 0x7f8, v55
	s_delay_alu instid0(VALU_DEP_4) | instskip(SKIP_4) | instid1(VALU_DEP_4)
	v_dual_fmamk_f32 v117, v48, 0x3eae86e6, v59 :: v_dual_mul_f32 v68, v14, v87
	v_dual_mul_f32 v14, 0x3f5ff5aa, v56 :: v_dual_fmac_f32 v75, v60, v69
	v_fma_f32 v67, 0xbf3bfb3b, v119, -v93
	v_sub_f32_e32 v52, v78, v96
	v_mul_f32_e32 v78, 0x3f5ff5aa, v19
	v_fma_f32 v118, 0xbeae86e6, v48, -v14
	v_fmamk_f32 v14, v108, 0xbf955555, v94
	v_mul_f32_e32 v76, v60, v89
	v_lshrrev_b32_e32 v60, 5, v57
	v_fma_f32 v89, 0x3f5ff5aa, v19, -v53
	s_wait_loadcnt 0x4
	v_mul_f32_e32 v127, v35, v44
	v_add_f32_e32 v121, v66, v14
	v_fma_f32 v74, v74, v69, -v76
	v_fma_f32 v76, v13, v70, -v68
	v_and_b32_e32 v13, 0x7f8, v16
	v_lshlrev_b32_e32 v16, 3, v79
	s_clause 0x3
	global_load_b64 v[90:91], v20, s[0:1]
	global_load_b64 v[92:93], v55, s[0:1] offset:2048
	global_load_b64 v[96:97], v13, s[0:1] offset:4096
	global_load_b64 v[102:103], v16, s[0:1]
	v_lshrrev_b32_e32 v13, 13, v57
	v_dual_add_f32 v120, v47, v14 :: v_dual_mul_f32 v47, v106, v32
	v_dual_fmac_f32 v127, v36, v43 :: v_dual_and_b32 v60, 0x7f8, v60
	s_delay_alu instid0(VALU_DEP_3) | instskip(SKIP_1) | instid1(VALU_DEP_4)
	v_and_b32_e32 v19, 0x7f8, v13
	v_mul_f32_e32 v13, v71, v101
	v_fmac_f32_e32 v47, v31, v99
	v_dual_fmamk_f32 v16, v107, 0xbf955555, v88 :: v_dual_mul_f32 v79, v52, v101
	v_fma_f32 v95, 0xbeae86e6, v122, -v78
	v_add_f32_e32 v122, v67, v14
	v_mul_f32_e32 v14, v99, v32
	v_dual_mul_f32 v32, v37, v40 :: v_dual_mul_f32 v87, v50, v47
	v_add_f32_e32 v100, v58, v16
	s_wait_loadcnt 0x6
	v_mul_f32_e32 v130, v17, v46
	v_fma_f32 v31, v31, v106, -v14
	v_add_f32_e32 v108, v15, v16
	v_dual_mul_f32 v15, v38, v40 :: v_dual_mul_f32 v40, v49, v47
	v_fmac_f32_e32 v32, v38, v39
	v_mul_f32_e32 v38, v22, v26
	v_mul_f32_e32 v26, v21, v26
	s_delay_alu instid0(VALU_DEP_4)
	v_fma_f32 v37, v37, v39, -v15
	v_fmac_f32_e32 v130, v18, v45
	v_fma_f32 v78, v52, v51, -v13
	v_fma_f32 v21, v21, v25, -v38
	v_fmac_f32_e32 v26, v22, v25
	v_mul_f32_e32 v22, v34, v42
	v_dual_mul_f32 v25, v33, v42 :: v_dual_and_b32 v20, 31, v113
	s_delay_alu instid0(VALU_DEP_4) | instskip(NEXT) | instid1(VALU_DEP_4)
	v_mul_f32_e32 v123, v21, v28
	v_mul_f32_e32 v28, v26, v28
	s_delay_alu instid0(VALU_DEP_4) | instskip(NEXT) | instid1(VALU_DEP_4)
	v_fma_f32 v22, v33, v41, -v22
	v_fmac_f32_e32 v25, v34, v41
	v_mul_f32_e32 v101, v37, v30
	v_fmac_f32_e32 v123, v27, v26
	v_fma_f32 v125, v27, v21, -v28
	v_mul_f32_e32 v126, v22, v24
	v_mul_f32_e32 v21, v25, v24
	v_mul_lo_u32 v26, v61, v20
	v_mul_u32_u24_e32 v13, 6, v20
	s_delay_alu instid0(VALU_DEP_4) | instskip(NEXT) | instid1(VALU_DEP_4)
	v_dual_fmac_f32 v101, v29, v32 :: v_dual_fmac_f32 v126, v23, v25
	v_fma_f32 v128, v23, v22, -v21
	v_or_b32_e32 v23, 32, v20
	v_mul_f32_e32 v21, v18, v46
	v_lshlrev_b32_e32 v99, 3, v13
	v_dual_add_f32 v119, v54, v16 :: v_dual_and_b32 v22, 0xff, v26
	s_delay_alu instid0(VALU_DEP_4) | instskip(SKIP_2) | instid1(VALU_DEP_4)
	v_mul_lo_u32 v18, v61, v23
	v_or_b32_e32 v23, 0x60, v20
	v_fma_f32 v131, v17, v45, -v21
	v_lshlrev_b32_e32 v17, 3, v22
	v_lshrrev_b32_e32 v22, 13, v26
	global_load_b128 v[13:16], v99, s[14:15] offset:272
	v_mul_lo_u32 v23, v61, v23
	v_dual_mul_f32 v24, v36, v44 :: v_dual_fmac_f32 v89, 0x3ee1c552, v109
	v_fma_f32 v86, v50, v31, -v40
	v_fmac_f32_e32 v87, v49, v31
	v_fmac_f32_e32 v117, 0x3ee1c552, v116
	s_delay_alu instid0(VALU_DEP_4)
	v_fma_f32 v129, v35, v43, -v24
	v_add_f32_e32 v132, v89, v121
	v_lshrrev_b32_e32 v24, 5, v26
	v_sub_f32_e32 v121, v121, v89
	v_fma_f32 v98, 0x3f5ff5aa, v56, -v59
	v_dual_fmac_f32 v118, 0x3ee1c552, v116 :: v_dual_fmac_f32 v115, 0x3ee1c552, v109
	s_delay_alu instid0(VALU_DEP_4)
	v_and_b32_e32 v21, 0x7f8, v24
	s_clause 0x3
	global_load_b64 v[104:105], v60, s[0:1] offset:2048
	global_load_b64 v[106:107], v19, s[0:1] offset:4096
	global_load_b64 v[33:34], v17, s[0:1]
	global_load_b64 v[35:36], v21, s[0:1] offset:2048
	v_or_b32_e32 v21, 64, v20
	v_and_b32_e32 v19, 0xff, v18
	v_and_b32_e32 v17, 0x7f8, v22
	v_lshrrev_b32_e32 v22, 5, v18
	v_lshrrev_b32_e32 v18, 13, v18
	v_mul_lo_u32 v21, v61, v21
	v_dual_mul_f32 v30, v32, v30 :: v_dual_lshlrev_b32 v19, 3, v19
	s_delay_alu instid0(VALU_DEP_4) | instskip(NEXT) | instid1(VALU_DEP_4)
	v_and_b32_e32 v22, 0x7f8, v22
	v_and_b32_e32 v18, 0x7f8, v18
	s_clause 0x3
	global_load_b64 v[49:50], v17, s[0:1] offset:4096
	global_load_b64 v[66:67], v19, s[0:1]
	global_load_b64 v[68:69], v22, s[0:1] offset:2048
	global_load_b64 v[47:48], v18, s[0:1] offset:4096
	v_or_b32_e32 v22, 0x80, v20
	v_and_b32_e32 v17, 0xff, v21
	v_lshrrev_b32_e32 v18, 5, v21
	v_lshrrev_b32_e32 v19, 13, v21
	v_and_b32_e32 v21, 0xff, v23
	v_mul_lo_u32 v22, v61, v22
	v_lshlrev_b32_e32 v17, 3, v17
	v_dual_add_f32 v89, v118, v119 :: v_dual_and_b32 v18, 0x7f8, v18
	v_and_b32_e32 v19, 0x7f8, v19
	v_or_b32_e32 v24, 0xa0, v20
	v_or_b32_e32 v20, 0xc0, v20
	v_dual_fmac_f32 v98, 0x3ee1c552, v116 :: v_dual_lshlrev_b32 v21, 3, v21
	v_fmac_f32_e32 v79, v71, v51
	v_fma_f32 v124, v29, v37, -v30
	s_clause 0x3
	global_load_b64 v[51:52], v17, s[0:1]
	global_load_b64 v[53:54], v18, s[0:1] offset:2048
	global_load_b64 v[37:38], v19, s[0:1] offset:4096
	global_load_b64 v[39:40], v21, s[0:1]
	v_lshrrev_b32_e32 v17, 5, v23
	v_lshrrev_b32_e32 v18, 13, v23
	v_and_b32_e32 v19, 0xff, v22
	v_mul_lo_u32 v20, v61, v20
	v_lshrrev_b32_e32 v23, 5, v22
	v_mul_lo_u32 v21, v61, v24
	v_dual_add_f32 v116, v98, v100 :: v_dual_and_b32 v17, 0x7f8, v17
	v_lshrrev_b32_e32 v22, 13, v22
	v_and_b32_e32 v18, 0x7f8, v18
	v_lshlrev_b32_e32 v19, 3, v19
	v_dual_sub_f32 v118, v119, v118 :: v_dual_and_b32 v23, 0x7f8, v23
	s_clause 0x3
	global_load_b64 v[70:71], v17, s[0:1] offset:2048
	global_load_b64 v[45:46], v18, s[0:1] offset:4096
	global_load_b64 v[41:42], v19, s[0:1]
	global_load_b64 v[43:44], v23, s[0:1] offset:2048
	v_and_b32_e32 v17, 0x7f8, v22
	v_and_b32_e32 v22, 0xff, v20
	v_and_b32_e32 v24, 0xff, v21
	v_lshrrev_b32_e32 v19, 5, v21
	v_lshrrev_b32_e32 v21, 13, v21
	;; [unrolled: 1-line block ×4, first 2 shown]
	v_dual_fmac_f32 v95, 0x3ee1c552, v109 :: v_dual_lshlrev_b32 v22, 3, v22
	v_dual_sub_f32 v109, v100, v98 :: v_dual_lshlrev_b32 v18, 3, v24
	v_and_b32_e32 v19, 0x7f8, v19
	v_and_b32_e32 v21, 0x7f8, v21
	s_delay_alu instid0(VALU_DEP_4)
	v_dual_sub_f32 v119, v122, v95 :: v_dual_and_b32 v20, 0x7f8, v20
	v_dual_add_f32 v122, v95, v122 :: v_dual_and_b32 v23, 0x7f8, v23
	s_clause 0x6
	global_load_b64 v[57:58], v17, s[0:1] offset:4096
	global_load_b64 v[55:56], v18, s[0:1]
	global_load_b64 v[59:60], v19, s[0:1] offset:2048
	global_load_b64 v[31:32], v21, s[0:1] offset:4096
	global_load_b64 v[27:28], v22, s[0:1]
	global_load_b64 v[29:30], v23, s[0:1] offset:2048
	global_load_b64 v[25:26], v20, s[0:1] offset:4096
	s_clause 0x1
	global_load_b128 v[17:20], v99, s[14:15] offset:256
	global_load_b128 v[21:24], v99, s[14:15] offset:240
	v_mul_f32_e32 v99, v94, v101
	v_mul_f32_e32 v101, v88, v101
	;; [unrolled: 1-line block ×3, first 2 shown]
	s_delay_alu instid0(VALU_DEP_3) | instskip(NEXT) | instid1(VALU_DEP_3)
	v_fma_f32 v100, v88, v124, -v99
	v_dual_sub_f32 v88, v120, v115 :: v_dual_fmac_f32 v101, v94, v124
	v_add_f32_e32 v94, v117, v108
	s_delay_alu instid0(VALU_DEP_2) | instskip(NEXT) | instid1(VALU_DEP_2)
	v_dual_fmac_f32 v95, v119, v128 :: v_dual_mul_f32 v98, v88, v123
	v_mul_f32_e32 v99, v94, v123
	s_delay_alu instid0(VALU_DEP_2) | instskip(SKIP_1) | instid1(VALU_DEP_1)
	v_fma_f32 v98, v94, v125, -v98
	v_mul_f32_e32 v94, v119, v126
	v_fma_f32 v94, v89, v128, -v94
	s_wait_loadcnt 0x1f
	v_mul_f32_e32 v124, v131, v111
	v_mul_f32_e32 v111, v130, v111
	s_delay_alu instid0(VALU_DEP_2) | instskip(SKIP_3) | instid1(VALU_DEP_2)
	v_dual_fmac_f32 v99, v88, v125 :: v_dual_fmac_f32 v124, v110, v130
	s_wait_loadcnt 0x1e
	v_mul_f32_e32 v123, v129, v73
	v_mul_f32_e32 v73, v127, v73
	v_fmac_f32_e32 v123, v72, v127
	s_delay_alu instid0(VALU_DEP_2) | instskip(NEXT) | instid1(VALU_DEP_2)
	v_fma_f32 v72, v72, v129, -v73
	v_mul_f32_e32 v73, v132, v123
	s_delay_alu instid0(VALU_DEP_1) | instskip(SKIP_4) | instid1(VALU_DEP_2)
	v_fma_f32 v88, v109, v72, -v73
	v_fma_f32 v73, v110, v131, -v111
	s_wait_loadcnt 0x1c
	v_mul_f32_e32 v119, v91, v93
	v_mul_f32_e32 v93, v90, v93
	v_fma_f32 v110, v90, v92, -v119
	s_delay_alu instid0(VALU_DEP_2) | instskip(SKIP_1) | instid1(VALU_DEP_2)
	v_fmac_f32_e32 v93, v91, v92
	s_wait_loadcnt 0x1b
	v_dual_mul_f32 v91, v116, v124 :: v_dual_mul_f32 v92, v110, v97
	v_mul_f32_e32 v89, v109, v123
	v_mul_f32_e32 v109, v121, v124
	;; [unrolled: 1-line block ×3, first 2 shown]
	s_delay_alu instid0(VALU_DEP_4) | instskip(SKIP_4) | instid1(VALU_DEP_4)
	v_fmac_f32_e32 v91, v121, v73
	v_fmac_f32_e32 v92, v96, v93
	v_fmac_f32_e32 v89, v132, v72
	v_fma_f32 v90, v116, v73, -v109
	v_fma_f32 v73, v96, v110, -v97
	v_mul_f32_e32 v96, v122, v92
	v_mul_f32_e32 v93, v118, v92
	s_delay_alu instid0(VALU_DEP_2) | instskip(NEXT) | instid1(VALU_DEP_2)
	v_fma_f32 v92, v118, v73, -v96
	v_fmac_f32_e32 v93, v122, v73
	s_wait_loadcnt 0x18
	v_mul_f32_e32 v72, v103, v105
	v_mul_f32_e32 v105, v102, v105
	s_delay_alu instid0(VALU_DEP_2) | instskip(NEXT) | instid1(VALU_DEP_2)
	v_fma_f32 v72, v102, v104, -v72
	v_fmac_f32_e32 v105, v103, v104
	v_dual_add_f32 v103, v115, v120 :: v_dual_sub_f32 v104, v108, v117
	s_wait_loadcnt 0x17
	s_delay_alu instid0(VALU_DEP_3) | instskip(NEXT) | instid1(VALU_DEP_1)
	v_mul_f32_e32 v102, v72, v107
	v_dual_mul_f32 v97, v105, v107 :: v_dual_fmac_f32 v102, v106, v105
	s_delay_alu instid0(VALU_DEP_1) | instskip(NEXT) | instid1(VALU_DEP_2)
	v_fma_f32 v72, v106, v72, -v97
	v_mul_f32_e32 v105, v103, v102
	v_mul_f32_e32 v97, v104, v102
	s_delay_alu instid0(VALU_DEP_2) | instskip(NEXT) | instid1(VALU_DEP_2)
	v_fma_f32 v96, v104, v72, -v105
	v_fmac_f32_e32 v97, v103, v72
	s_wait_alu 0xfffe
	s_cbranch_vccnz .LBB0_14
; %bb.13:
	v_cmp_lt_u32_e32 vcc_lo, 0x23f, v0
	s_lshl_b64 s[14:15], s[6:7], 3
	s_delay_alu instid0(SALU_CYCLE_1) | instskip(SKIP_3) | instid1(VALU_DEP_1)
	s_add_nc_u64 s[14:15], s[12:13], s[14:15]
	s_and_b32 s16, s2, exec_lo
	s_wait_alu 0xfffd
	v_cndmask_b32_e64 v72, 0, 0xe0, vcc_lo
	v_or_b32_e32 v119, v112, v72
	v_mad_co_u64_u32 v[72:73], null, s4, v114, 0
	s_delay_alu instid0(VALU_DEP_2) | instskip(SKIP_1) | instid1(VALU_DEP_3)
	v_mad_co_u64_u32 v[102:103], null, s8, v119, 0
	v_add_nc_u32_e32 v120, 0xa0, v119
	v_mad_co_u64_u32 v[104:105], null, s5, v114, v[73:74]
	s_delay_alu instid0(VALU_DEP_1) | instskip(NEXT) | instid1(VALU_DEP_1)
	v_dual_mov_b32 v73, v104 :: v_dual_add_nc_u32 v110, 32, v119
	v_mad_co_u64_u32 v[105:106], null, s8, v110, 0
	v_add_nc_u32_e32 v111, 64, v119
	v_mad_co_u64_u32 v[107:108], null, s9, v119, v[103:104]
	s_delay_alu instid0(VALU_DEP_4) | instskip(NEXT) | instid1(VALU_DEP_4)
	v_lshlrev_b64_e32 v[72:73], 3, v[72:73]
	v_mov_b32_e32 v104, v106
	s_delay_alu instid0(VALU_DEP_4) | instskip(SKIP_1) | instid1(VALU_DEP_4)
	v_mad_co_u64_u32 v[108:109], null, s8, v111, 0
	v_add_nc_u32_e32 v117, 0x60, v119
	v_add_co_u32 v72, vcc_lo, s14, v72
	s_wait_alu 0xfffd
	v_add_co_ci_u32_e32 v73, vcc_lo, s15, v73, vcc_lo
	s_delay_alu instid0(VALU_DEP_4) | instskip(SKIP_3) | instid1(VALU_DEP_4)
	v_mov_b32_e32 v106, v109
	v_mad_co_u64_u32 v[109:110], null, s9, v110, v[104:105]
	v_mov_b32_e32 v103, v107
	v_mad_co_u64_u32 v[115:116], null, s8, v117, 0
	v_mad_co_u64_u32 v[110:111], null, s9, v111, v[106:107]
	s_delay_alu instid0(VALU_DEP_4) | instskip(NEXT) | instid1(VALU_DEP_4)
	v_dual_mov_b32 v106, v109 :: v_dual_add_nc_u32 v111, 0x80, v119
	v_lshlrev_b64_e32 v[102:103], 3, v[102:103]
	s_delay_alu instid0(VALU_DEP_4) | instskip(NEXT) | instid1(VALU_DEP_2)
	v_dual_mov_b32 v104, v116 :: v_dual_add_nc_u32 v119, 0xc0, v119
	v_add_co_u32 v102, vcc_lo, v72, v102
	s_wait_alu 0xfffd
	s_delay_alu instid0(VALU_DEP_3) | instskip(SKIP_4) | instid1(VALU_DEP_3)
	v_add_co_ci_u32_e32 v103, vcc_lo, v73, v103, vcc_lo
	global_store_b64 v[102:103], v[84:85], off
	v_lshlrev_b64_e32 v[102:103], 3, v[105:106]
	v_mad_co_u64_u32 v[105:106], null, s8, v111, 0
	v_mov_b32_e32 v109, v110
	v_add_co_u32 v102, vcc_lo, v72, v102
	s_delay_alu instid0(VALU_DEP_2) | instskip(NEXT) | instid1(VALU_DEP_4)
	v_lshlrev_b64_e32 v[107:108], 3, v[108:109]
	v_mad_co_u64_u32 v[109:110], null, s9, v117, v[104:105]
	v_mov_b32_e32 v104, v106
	s_wait_alu 0xfffd
	v_add_co_ci_u32_e32 v103, vcc_lo, v73, v103, vcc_lo
	s_delay_alu instid0(VALU_DEP_4) | instskip(NEXT) | instid1(VALU_DEP_3)
	v_add_co_u32 v106, vcc_lo, v72, v107
	v_mad_co_u64_u32 v[110:111], null, s9, v111, v[104:105]
	s_wait_alu 0xfffd
	v_add_co_ci_u32_e32 v107, vcc_lo, v73, v108, vcc_lo
	v_mad_co_u64_u32 v[117:118], null, s8, v120, 0
	v_mov_b32_e32 v116, v109
	s_clause 0x1
	global_store_b64 v[102:103], v[82:83], off
	global_store_b64 v[106:107], v[80:81], off
	v_mov_b32_e32 v106, v110
	v_mad_co_u64_u32 v[107:108], null, s8, v119, 0
	v_lshlrev_b64_e32 v[102:103], 3, v[115:116]
	v_mov_b32_e32 v104, v118
	s_delay_alu instid0(VALU_DEP_4) | instskip(SKIP_1) | instid1(VALU_DEP_4)
	v_lshlrev_b64_e32 v[105:106], 3, v[105:106]
	v_lshrrev_b32_e32 v111, 5, v63
	v_add_co_u32 v102, vcc_lo, v72, v102
	s_delay_alu instid0(VALU_DEP_3) | instskip(NEXT) | instid1(VALU_DEP_3)
	v_mad_co_u64_u32 v[109:110], null, s9, v120, v[104:105]
	v_mad_co_u64_u32 v[110:111], null, 0xc0, v111, v[63:64]
	s_wait_alu 0xfffd
	v_add_co_ci_u32_e32 v103, vcc_lo, v73, v103, vcc_lo
	v_mov_b32_e32 v104, v108
	v_add_co_u32 v105, vcc_lo, v72, v105
	v_mov_b32_e32 v118, v109
	v_mad_co_u64_u32 v[115:116], null, s8, v110, 0
	s_delay_alu instid0(VALU_DEP_3)
	v_mad_co_u64_u32 v[108:109], null, s9, v119, v[104:105]
	s_wait_alu 0xfffd
	v_add_co_ci_u32_e32 v106, vcc_lo, v73, v106, vcc_lo
	global_store_b64 v[102:103], v[74:75], off
	v_lshlrev_b64_e32 v[102:103], 3, v[117:118]
	v_mov_b32_e32 v104, v116
	global_store_b64 v[105:106], v[76:77], off
	v_lshlrev_b64_e32 v[105:106], 3, v[107:108]
	v_add_nc_u32_e32 v111, 32, v110
	v_add_nc_u32_e32 v117, 64, v110
	v_add_co_u32 v102, vcc_lo, v72, v102
	s_wait_alu 0xfffd
	v_add_co_ci_u32_e32 v103, vcc_lo, v73, v103, vcc_lo
	v_mad_co_u64_u32 v[107:108], null, s9, v110, v[104:105]
	v_mad_co_u64_u32 v[108:109], null, s8, v111, 0
	v_add_co_u32 v104, vcc_lo, v72, v105
	s_wait_alu 0xfffd
	v_add_co_ci_u32_e32 v105, vcc_lo, v73, v106, vcc_lo
	s_delay_alu instid0(VALU_DEP_4)
	v_mov_b32_e32 v116, v107
	global_store_b64 v[102:103], v[78:79], off
	v_mov_b32_e32 v102, v109
	global_store_b64 v[104:105], v[86:87], off
	v_add_nc_u32_e32 v118, 0xa0, v110
	v_lshlrev_b64_e32 v[103:104], 3, v[115:116]
	v_add_nc_u32_e32 v119, 0xc0, v110
	s_delay_alu instid0(VALU_DEP_2)
	v_mad_co_u64_u32 v[105:106], null, s9, v111, v[102:103]
	v_add_nc_u32_e32 v111, 0x60, v110
	v_add_co_u32 v102, vcc_lo, v72, v103
	v_mad_co_u64_u32 v[106:107], null, s8, v117, 0
	s_wait_alu 0xfffd
	v_add_co_ci_u32_e32 v103, vcc_lo, v73, v104, vcc_lo
	v_mov_b32_e32 v109, v105
	v_mad_co_u64_u32 v[104:105], null, s8, v111, 0
	global_store_b64 v[102:103], v[100:101], off
	v_lshlrev_b64_e32 v[108:109], 3, v[108:109]
	s_delay_alu instid0(VALU_DEP_1) | instskip(SKIP_3) | instid1(VALU_DEP_4)
	v_mad_co_u64_u32 v[102:103], null, s9, v117, v[107:108]
	v_mov_b32_e32 v103, v105
	v_add_co_u32 v107, vcc_lo, v72, v108
	s_wait_alu 0xfffd
	v_add_co_ci_u32_e32 v108, vcc_lo, v73, v109, vcc_lo
	s_delay_alu instid0(VALU_DEP_3)
	v_mad_co_u64_u32 v[115:116], null, s9, v111, v[103:104]
	v_add_nc_u32_e32 v117, 0x80, v110
	global_store_b64 v[107:108], v[98:99], off
	v_mov_b32_e32 v107, v102
	v_mad_co_u64_u32 v[108:109], null, s8, v118, 0
	v_mad_co_u64_u32 v[102:103], null, s8, v117, 0
	v_mov_b32_e32 v105, v115
	v_mad_co_u64_u32 v[110:111], null, s8, v119, 0
	v_lshlrev_b64_e32 v[106:107], 3, v[106:107]
	s_delay_alu instid0(VALU_DEP_3) | instskip(NEXT) | instid1(VALU_DEP_2)
	v_lshlrev_b64_e32 v[104:105], 3, v[104:105]
	v_add_co_u32 v106, vcc_lo, v72, v106
	s_delay_alu instid0(VALU_DEP_2)
	v_mad_co_u64_u32 v[115:116], null, s9, v117, v[103:104]
	v_mad_co_u64_u32 v[116:117], null, s9, v118, v[109:110]
	v_mov_b32_e32 v109, v111
	s_wait_alu 0xfffd
	v_add_co_ci_u32_e32 v107, vcc_lo, v73, v107, vcc_lo
	v_add_co_u32 v104, vcc_lo, v72, v104
	s_delay_alu instid0(VALU_DEP_3)
	v_mad_co_u64_u32 v[117:118], null, s9, v119, v[109:110]
	v_mov_b32_e32 v103, v115
	s_wait_alu 0xfffd
	v_add_co_ci_u32_e32 v105, vcc_lo, v73, v105, vcc_lo
	v_mov_b32_e32 v109, v116
	global_store_b64 v[106:107], v[94:95], off
	v_lshlrev_b64_e32 v[102:103], 3, v[102:103]
	v_mov_b32_e32 v111, v117
	global_store_b64 v[104:105], v[88:89], off
	v_lshlrev_b64_e32 v[104:105], 3, v[108:109]
	v_add_co_u32 v102, vcc_lo, v72, v102
	v_lshlrev_b64_e32 v[106:107], 3, v[110:111]
	s_wait_alu 0xfffd
	v_add_co_ci_u32_e32 v103, vcc_lo, v73, v103, vcc_lo
	s_delay_alu instid0(VALU_DEP_4)
	v_add_co_u32 v104, vcc_lo, v72, v104
	s_wait_alu 0xfffd
	v_add_co_ci_u32_e32 v105, vcc_lo, v73, v105, vcc_lo
	v_add_co_u32 v106, vcc_lo, v72, v106
	s_wait_alu 0xfffd
	v_add_co_ci_u32_e32 v107, vcc_lo, v73, v107, vcc_lo
	s_clause 0x2
	global_store_b64 v[102:103], v[90:91], off
	global_store_b64 v[104:105], v[92:93], off
	;; [unrolled: 1-line block ×3, first 2 shown]
	s_cbranch_execz .LBB0_15
	s_branch .LBB0_18
.LBB0_14:
                                        ; implicit-def: $vgpr72_vgpr73
.LBB0_15:
	s_mov_b32 s0, exec_lo
                                        ; implicit-def: $vgpr72_vgpr73
	v_cmpx_gt_u64_e64 s[10:11], v[61:62]
	s_cbranch_execz .LBB0_17
; %bb.16:
	v_cmp_lt_u32_e32 vcc_lo, 0x23f, v0
	v_mad_co_u64_u32 v[61:62], null, s4, v114, 0
	s_lshl_b64 s[6:7], s[6:7], 3
	s_wait_alu 0xfffe
	s_and_not1_b32 s1, s16, exec_lo
	s_wait_alu 0xfffd
	v_cndmask_b32_e64 v0, 0, 0xe0, vcc_lo
	s_and_b32 s2, s2, exec_lo
	s_wait_alu 0xfffe
	s_or_b32 s16, s1, s2
	s_delay_alu instid0(VALU_DEP_1) | instskip(NEXT) | instid1(VALU_DEP_1)
	v_or_b32_e32 v115, v112, v0
	v_dual_mov_b32 v0, v62 :: v_dual_add_nc_u32 v117, 0x60, v115
	v_mad_co_u64_u32 v[72:73], null, s8, v115, 0
	s_delay_alu instid0(VALU_DEP_2) | instskip(SKIP_3) | instid1(VALU_DEP_4)
	v_mad_co_u64_u32 v[102:103], null, s5, v114, v[0:1]
	v_add_nc_u32_e32 v116, 64, v115
	s_add_nc_u64 s[4:5], s[12:13], s[6:7]
	v_mad_co_u64_u32 v[108:109], null, s8, v117, 0
	v_mov_b32_e32 v62, v73
	v_add_nc_u32_e32 v114, 0x80, v115
	s_delay_alu instid0(VALU_DEP_2) | instskip(SKIP_2) | instid1(VALU_DEP_3)
	v_mad_co_u64_u32 v[105:106], null, s9, v115, v[62:63]
	v_add_nc_u32_e32 v110, 32, v115
	v_mad_co_u64_u32 v[106:107], null, s8, v116, 0
	v_dual_mov_b32 v62, v102 :: v_dual_mov_b32 v73, v105
	s_delay_alu instid0(VALU_DEP_3) | instskip(NEXT) | instid1(VALU_DEP_2)
	v_mad_co_u64_u32 v[103:104], null, s8, v110, 0
	v_lshlrev_b64_e32 v[61:62], 3, v[61:62]
	s_delay_alu instid0(VALU_DEP_4) | instskip(NEXT) | instid1(VALU_DEP_3)
	v_mov_b32_e32 v102, v107
	v_mov_b32_e32 v0, v104
	s_delay_alu instid0(VALU_DEP_1)
	v_mad_co_u64_u32 v[104:105], null, s9, v110, v[0:1]
	v_lshlrev_b64_e32 v[110:111], 3, v[72:73]
	s_wait_alu 0xfffe
	v_add_co_u32 v72, vcc_lo, s4, v61
	s_wait_alu 0xfffd
	v_add_co_ci_u32_e32 v73, vcc_lo, s5, v62, vcc_lo
	v_mad_co_u64_u32 v[61:62], null, s9, v116, v[102:103]
	s_delay_alu instid0(VALU_DEP_3) | instskip(SKIP_1) | instid1(VALU_DEP_3)
	v_add_co_u32 v110, vcc_lo, v72, v110
	s_wait_alu 0xfffd
	v_add_co_ci_u32_e32 v111, vcc_lo, v73, v111, vcc_lo
	s_delay_alu instid0(VALU_DEP_3)
	v_dual_mov_b32 v0, v109 :: v_dual_mov_b32 v107, v61
	global_store_b64 v[110:111], v[84:85], off
	v_lshlrev_b64_e32 v[84:85], 3, v[103:104]
	v_mad_co_u64_u32 v[61:62], null, s8, v114, 0
	v_lshlrev_b64_e32 v[102:103], 3, v[106:107]
	v_mad_co_u64_u32 v[104:105], null, s9, v117, v[0:1]
	s_delay_alu instid0(VALU_DEP_4)
	v_add_co_u32 v84, vcc_lo, v72, v84
	s_wait_alu 0xfffd
	v_add_co_ci_u32_e32 v85, vcc_lo, v73, v85, vcc_lo
	v_mov_b32_e32 v0, v62
	v_add_co_u32 v102, vcc_lo, v72, v102
	v_add_nc_u32_e32 v110, 0xa0, v115
	s_wait_alu 0xfffd
	v_add_co_ci_u32_e32 v103, vcc_lo, v73, v103, vcc_lo
	v_mad_co_u64_u32 v[105:106], null, s9, v114, v[0:1]
	s_delay_alu instid0(VALU_DEP_3) | instskip(SKIP_4) | instid1(VALU_DEP_1)
	v_mad_co_u64_u32 v[106:107], null, s8, v110, 0
	s_clause 0x1
	global_store_b64 v[84:85], v[82:83], off
	global_store_b64 v[102:103], v[80:81], off
	v_dual_mov_b32 v109, v104 :: v_dual_add_nc_u32 v102, 0xc0, v115
	v_mad_co_u64_u32 v[82:83], null, s8, v102, 0
	v_mov_b32_e32 v0, v107
	s_delay_alu instid0(VALU_DEP_3) | instskip(NEXT) | instid1(VALU_DEP_2)
	v_lshlrev_b64_e32 v[80:81], 3, v[108:109]
	v_mad_co_u64_u32 v[84:85], null, s9, v110, v[0:1]
	s_delay_alu instid0(VALU_DEP_4) | instskip(SKIP_1) | instid1(VALU_DEP_4)
	v_mov_b32_e32 v0, v83
	v_lshrrev_b32_e32 v83, 5, v63
	v_add_co_u32 v80, vcc_lo, v72, v80
	s_wait_alu 0xfffd
	v_add_co_ci_u32_e32 v81, vcc_lo, v73, v81, vcc_lo
	v_mad_co_u64_u32 v[102:103], null, s9, v102, v[0:1]
	v_mad_co_u64_u32 v[103:104], null, 0xc0, v83, v[63:64]
	v_dual_mov_b32 v62, v105 :: v_dual_mov_b32 v107, v84
	s_delay_alu instid0(VALU_DEP_3) | instskip(NEXT) | instid1(VALU_DEP_2)
	v_mov_b32_e32 v83, v102
	v_lshlrev_b64_e32 v[61:62], 3, v[61:62]
	s_delay_alu instid0(VALU_DEP_4) | instskip(SKIP_1) | instid1(VALU_DEP_3)
	v_add_nc_u32_e32 v84, 32, v103
	v_add_nc_u32_e32 v102, 64, v103
	v_add_co_u32 v61, vcc_lo, v72, v61
	s_wait_alu 0xfffd
	s_delay_alu instid0(VALU_DEP_4)
	v_add_co_ci_u32_e32 v62, vcc_lo, v73, v62, vcc_lo
	s_clause 0x1
	global_store_b64 v[80:81], v[74:75], off
	global_store_b64 v[61:62], v[76:77], off
	v_mad_co_u64_u32 v[74:75], null, s8, v103, 0
	v_mad_co_u64_u32 v[80:81], null, s8, v84, 0
	v_lshlrev_b64_e32 v[61:62], 3, v[106:107]
	v_lshlrev_b64_e32 v[76:77], 3, v[82:83]
	s_delay_alu instid0(VALU_DEP_3) | instskip(NEXT) | instid1(VALU_DEP_3)
	v_dual_mov_b32 v0, v75 :: v_dual_mov_b32 v63, v81
	v_add_co_u32 v61, vcc_lo, v72, v61
	s_delay_alu instid0(VALU_DEP_2) | instskip(SKIP_1) | instid1(VALU_DEP_4)
	v_mad_co_u64_u32 v[81:82], null, s9, v103, v[0:1]
	v_mad_co_u64_u32 v[82:83], null, s8, v102, 0
	;; [unrolled: 1-line block ×3, first 2 shown]
	s_wait_alu 0xfffd
	v_add_co_ci_u32_e32 v62, vcc_lo, v73, v62, vcc_lo
	s_delay_alu instid0(VALU_DEP_4)
	v_mov_b32_e32 v75, v81
	v_add_co_u32 v76, vcc_lo, v72, v76
	v_mov_b32_e32 v0, v83
	s_wait_alu 0xfffd
	v_add_co_ci_u32_e32 v77, vcc_lo, v73, v77, vcc_lo
	v_mov_b32_e32 v81, v84
	global_store_b64 v[61:62], v[78:79], off
	v_lshlrev_b64_e32 v[61:62], 3, v[74:75]
	v_mad_co_u64_u32 v[74:75], null, s9, v102, v[0:1]
	v_add_nc_u32_e32 v63, 0x60, v103
	global_store_b64 v[76:77], v[86:87], off
	v_lshlrev_b64_e32 v[75:76], 3, v[80:81]
	v_add_co_u32 v61, vcc_lo, v72, v61
	v_mad_co_u64_u32 v[77:78], null, s8, v63, 0
	s_wait_alu 0xfffd
	v_add_co_ci_u32_e32 v62, vcc_lo, v73, v62, vcc_lo
	v_mov_b32_e32 v83, v74
	v_add_co_u32 v74, vcc_lo, v72, v75
	s_wait_alu 0xfffd
	v_add_co_ci_u32_e32 v75, vcc_lo, v73, v76, vcc_lo
	v_add_nc_u32_e32 v76, 0x80, v103
	v_mov_b32_e32 v0, v78
	global_store_b64 v[61:62], v[100:101], off
	v_lshlrev_b64_e32 v[61:62], 3, v[82:83]
	v_add_nc_u32_e32 v83, 0xa0, v103
	global_store_b64 v[74:75], v[98:99], off
	v_mad_co_u64_u32 v[74:75], null, s8, v76, 0
	v_add_nc_u32_e32 v84, 0xc0, v103
	v_mad_co_u64_u32 v[78:79], null, s9, v63, v[0:1]
	v_mad_co_u64_u32 v[79:80], null, s8, v83, 0
	s_delay_alu instid0(VALU_DEP_3) | instskip(SKIP_4) | instid1(VALU_DEP_3)
	v_mad_co_u64_u32 v[81:82], null, s8, v84, 0
	v_mov_b32_e32 v0, v75
	v_add_co_u32 v61, vcc_lo, v72, v61
	s_wait_alu 0xfffd
	v_add_co_ci_u32_e32 v62, vcc_lo, v73, v62, vcc_lo
	v_mad_co_u64_u32 v[75:76], null, s9, v76, v[0:1]
	v_dual_mov_b32 v0, v80 :: v_dual_mov_b32 v63, v82
	global_store_b64 v[61:62], v[94:95], off
	v_lshlrev_b64_e32 v[61:62], 3, v[77:78]
	v_mad_co_u64_u32 v[76:77], null, s9, v83, v[0:1]
	v_lshlrev_b64_e32 v[74:75], 3, v[74:75]
	v_mad_co_u64_u32 v[77:78], null, s9, v84, v[63:64]
	s_delay_alu instid0(VALU_DEP_4)
	v_add_co_u32 v61, vcc_lo, v72, v61
	s_wait_alu 0xfffd
	v_add_co_ci_u32_e32 v62, vcc_lo, v73, v62, vcc_lo
	v_mov_b32_e32 v80, v76
	v_add_co_u32 v74, vcc_lo, v72, v74
	s_wait_alu 0xfffd
	v_add_co_ci_u32_e32 v75, vcc_lo, v73, v75, vcc_lo
	v_mov_b32_e32 v82, v77
	global_store_b64 v[61:62], v[88:89], off
	v_lshlrev_b64_e32 v[61:62], 3, v[79:80]
	global_store_b64 v[74:75], v[90:91], off
	v_lshlrev_b64_e32 v[74:75], 3, v[81:82]
	v_add_co_u32 v61, vcc_lo, v72, v61
	s_wait_alu 0xfffd
	v_add_co_ci_u32_e32 v62, vcc_lo, v73, v62, vcc_lo
	s_delay_alu instid0(VALU_DEP_3)
	v_add_co_u32 v74, vcc_lo, v72, v74
	s_wait_alu 0xfffd
	v_add_co_ci_u32_e32 v75, vcc_lo, v73, v75, vcc_lo
	s_clause 0x1
	global_store_b64 v[61:62], v[92:93], off
	global_store_b64 v[74:75], v[96:97], off
.LBB0_17:
	s_or_b32 exec_lo, exec_lo, s0
.LBB0_18:
	s_wait_alu 0xfffe
	s_and_saveexec_b32 s0, s16
	s_cbranch_execnz .LBB0_20
; %bb.19:
	s_nop 0
	s_sendmsg sendmsg(MSG_DEALLOC_VGPRS)
	s_endpgm
.LBB0_20:
	s_wait_loadcnt 0x0
	v_dual_mul_f32 v0, v2, v22 :: v_dual_mul_f32 v61, v4, v24
	v_mul_f32_e32 v22, v1, v22
	v_mul_f32_e32 v24, v3, v24
	s_delay_alu instid0(VALU_DEP_3) | instskip(SKIP_1) | instid1(VALU_DEP_4)
	v_fma_f32 v0, v1, v21, -v0
	v_mul_f32_e32 v1, v6, v18
	v_fmac_f32_e32 v22, v2, v21
	v_mul_f32_e32 v2, v5, v18
	v_mul_f32_e32 v18, v8, v20
	v_fma_f32 v3, v3, v23, -v61
	v_fmac_f32_e32 v24, v4, v23
	v_fma_f32 v1, v5, v17, -v1
	v_mul_f32_e32 v5, v12, v16
	v_fma_f32 v4, v7, v19, -v18
	v_mul_f32_e32 v7, v7, v20
	s_delay_alu instid0(VALU_DEP_3) | instskip(NEXT) | instid1(VALU_DEP_2)
	v_fma_f32 v5, v11, v15, -v5
	v_dual_fmac_f32 v7, v8, v19 :: v_dual_fmac_f32 v2, v6, v17
	v_mul_f32_e32 v6, v11, v16
	v_mul_f32_e32 v16, v10, v14
	;; [unrolled: 1-line block ×3, first 2 shown]
	s_delay_alu instid0(VALU_DEP_2) | instskip(NEXT) | instid1(VALU_DEP_2)
	v_fma_f32 v8, v9, v13, -v16
	v_fmac_f32_e32 v14, v10, v13
	v_add_f32_e32 v9, v0, v5
	v_fmac_f32_e32 v6, v12, v15
	v_sub_f32_e32 v0, v0, v5
	v_dual_add_f32 v12, v1, v4 :: v_dual_sub_f32 v1, v4, v1
	s_delay_alu instid0(VALU_DEP_3) | instskip(SKIP_4) | instid1(VALU_DEP_4)
	v_add_f32_e32 v10, v22, v6
	v_dual_sub_f32 v5, v22, v6 :: v_dual_add_f32 v6, v3, v8
	v_sub_f32_e32 v3, v3, v8
	v_add_f32_e32 v11, v24, v14
	v_dual_add_f32 v13, v2, v7 :: v_dual_sub_f32 v2, v7, v2
	v_add_f32_e32 v4, v6, v9
	s_delay_alu instid0(VALU_DEP_3) | instskip(SKIP_4) | instid1(VALU_DEP_3)
	v_dual_sub_f32 v18, v1, v3 :: v_dual_sub_f32 v15, v11, v10
	v_sub_f32_e32 v8, v24, v14
	v_dual_sub_f32 v14, v6, v9 :: v_dual_sub_f32 v9, v9, v12
	v_add_f32_e32 v7, v11, v10
	v_dual_sub_f32 v11, v13, v11 :: v_dual_mul_f32 v24, v27, v30
	v_mul_f32_e32 v9, 0x3f4a47b2, v9
	s_delay_alu instid0(VALU_DEP_3)
	v_add_f32_e32 v7, v13, v7
	v_dual_add_f32 v16, v1, v3 :: v_dual_sub_f32 v1, v0, v1
	v_sub_f32_e32 v3, v3, v0
	v_sub_f32_e32 v19, v2, v8
	;; [unrolled: 1-line block ×3, first 2 shown]
	v_dual_sub_f32 v6, v12, v6 :: v_dual_add_f32 v17, v2, v8
	v_add_f32_e32 v13, v65, v7
	v_sub_f32_e32 v2, v5, v2
	v_dual_add_f32 v4, v12, v4 :: v_dual_mul_f32 v19, 0xbf08b237, v19
	s_delay_alu instid0(VALU_DEP_3) | instskip(SKIP_4) | instid1(VALU_DEP_1)
	v_dual_fmac_f32 v24, v28, v29 :: v_dual_fmamk_f32 v7, v7, 0xbf955555, v13
	v_mul_f32_e32 v10, 0x3f4a47b2, v10
	v_sub_f32_e32 v8, v8, v5
	v_add_f32_e32 v5, v17, v5
	v_dual_mul_f32 v17, 0x3d64c772, v11 :: v_dual_add_f32 v0, v16, v0
	v_fma_f32 v17, 0x3f3bfb3b, v15, -v17
	s_delay_alu instid0(VALU_DEP_1)
	v_add_f32_e32 v17, v17, v7
	v_fmamk_f32 v11, v11, 0x3d64c772, v10
	v_mul_f32_e32 v21, 0x3f5ff5aa, v8
	v_add_f32_e32 v12, v64, v4
	v_fma_f32 v10, 0xbf3bfb3b, v15, -v10
	v_mul_f32_e32 v16, 0x3d64c772, v6
	v_fmamk_f32 v15, v2, 0x3eae86e6, v19
	v_fma_f32 v2, 0xbeae86e6, v2, -v21
	v_fma_f32 v8, 0x3f5ff5aa, v8, -v19
	v_add_f32_e32 v11, v11, v7
	v_dual_add_f32 v7, v10, v7 :: v_dual_fmamk_f32 v4, v4, 0xbf955555, v12
	v_fma_f32 v16, 0x3f3bfb3b, v14, -v16
	v_fmac_f32_e32 v2, 0x3ee1c552, v5
	v_fmamk_f32 v6, v6, 0x3d64c772, v9
	v_fmac_f32_e32 v15, 0x3ee1c552, v5
	v_fmac_f32_e32 v8, 0x3ee1c552, v5
	v_add_f32_e32 v16, v16, v4
	v_mul_f32_e32 v18, 0xbf08b237, v18
	v_add_f32_e32 v6, v6, v4
	v_mul_f32_e32 v20, 0x3f5ff5aa, v3
	v_fma_f32 v9, 0xbf3bfb3b, v14, -v9
	s_delay_alu instid0(VALU_DEP_4) | instskip(NEXT) | instid1(VALU_DEP_4)
	v_dual_sub_f32 v19, v16, v8 :: v_dual_fmamk_f32 v14, v1, 0x3eae86e6, v18
	v_add_f32_e32 v5, v15, v6
	s_delay_alu instid0(VALU_DEP_4) | instskip(SKIP_2) | instid1(VALU_DEP_3)
	v_fma_f32 v1, 0xbeae86e6, v1, -v20
	v_fma_f32 v3, 0x3f5ff5aa, v3, -v18
	v_add_f32_e32 v4, v9, v4
	v_fmac_f32_e32 v1, 0x3ee1c552, v0
	s_delay_alu instid0(VALU_DEP_1) | instskip(SKIP_2) | instid1(VALU_DEP_3)
	v_dual_fmac_f32 v3, 0x3ee1c552, v0 :: v_dual_sub_f32 v18, v7, v1
	v_add_f32_e32 v21, v1, v7
	v_mul_f32_e32 v1, v66, v69
	v_add_f32_e32 v20, v3, v17
	s_delay_alu instid0(VALU_DEP_2) | instskip(SKIP_3) | instid1(VALU_DEP_2)
	v_fmac_f32_e32 v1, v67, v68
	v_add_f32_e32 v8, v8, v16
	v_dual_sub_f32 v16, v17, v3 :: v_dual_mul_f32 v3, v67, v69
	v_sub_f32_e32 v17, v4, v2
	v_fma_f32 v3, v66, v68, -v3
	s_delay_alu instid0(VALU_DEP_1) | instskip(SKIP_1) | instid1(VALU_DEP_2)
	v_mul_f32_e32 v7, v3, v48
	v_fmac_f32_e32 v14, 0x3ee1c552, v0
	v_dual_mul_f32 v0, v34, v36 :: v_dual_fmac_f32 v7, v47, v1
	s_delay_alu instid0(VALU_DEP_2) | instskip(NEXT) | instid1(VALU_DEP_2)
	v_dual_sub_f32 v9, v11, v14 :: v_dual_add_f32 v10, v2, v4
	v_fma_f32 v0, v33, v35, -v0
	v_add_f32_e32 v23, v14, v11
	v_dual_mul_f32 v11, v51, v54 :: v_dual_mul_f32 v2, v33, v36
	s_delay_alu instid0(VALU_DEP_3) | instskip(NEXT) | instid1(VALU_DEP_2)
	v_mul_f32_e32 v4, v0, v50
	v_dual_fmac_f32 v11, v52, v53 :: v_dual_fmac_f32 v2, v34, v35
	v_sub_f32_e32 v22, v6, v15
	s_delay_alu instid0(VALU_DEP_2) | instskip(NEXT) | instid1(VALU_DEP_4)
	v_mul_f32_e32 v6, v2, v50
	v_fmac_f32_e32 v4, v49, v2
	v_mul_f32_e32 v2, v1, v48
	s_delay_alu instid0(VALU_DEP_3) | instskip(NEXT) | instid1(VALU_DEP_3)
	v_fma_f32 v6, v49, v0, -v6
	v_mul_f32_e32 v0, v13, v4
	v_mul_f32_e32 v1, v12, v4
	s_delay_alu instid0(VALU_DEP_4) | instskip(SKIP_1) | instid1(VALU_DEP_4)
	v_fma_f32 v4, v47, v3, -v2
	v_dual_mul_f32 v2, v52, v54 :: v_dual_mul_f32 v3, v9, v7
	v_fma_f32 v0, v12, v6, -v0
	s_delay_alu instid0(VALU_DEP_4) | instskip(SKIP_1) | instid1(VALU_DEP_4)
	v_fmac_f32_e32 v1, v13, v6
	v_mul_f32_e32 v13, v11, v38
	v_fma_f32 v6, v51, v53, -v2
	v_fma_f32 v2, v5, v4, -v3
	v_mul_f32_e32 v3, v5, v7
	v_mul_f32_e32 v7, v39, v71
	s_delay_alu instid0(VALU_DEP_4) | instskip(SKIP_1) | instid1(VALU_DEP_4)
	v_mul_f32_e32 v5, v6, v38
	v_fma_f32 v6, v37, v6, -v13
	v_fmac_f32_e32 v3, v9, v4
	s_delay_alu instid0(VALU_DEP_4) | instskip(SKIP_2) | instid1(VALU_DEP_3)
	v_fmac_f32_e32 v7, v40, v70
	v_mul_f32_e32 v12, v40, v71
	v_dual_fmac_f32 v5, v37, v11 :: v_dual_mul_f32 v4, v42, v44
	v_mul_f32_e32 v13, v7, v46
	s_delay_alu instid0(VALU_DEP_3) | instskip(NEXT) | instid1(VALU_DEP_3)
	v_fma_f32 v12, v39, v70, -v12
	v_mul_f32_e32 v11, v18, v5
	s_delay_alu instid0(VALU_DEP_4) | instskip(SKIP_1) | instid1(VALU_DEP_4)
	v_fma_f32 v14, v41, v43, -v4
	v_mul_f32_e32 v5, v10, v5
	v_mul_f32_e32 v9, v12, v46
	s_delay_alu instid0(VALU_DEP_4) | instskip(NEXT) | instid1(VALU_DEP_4)
	v_fma_f32 v4, v10, v6, -v11
	v_mul_f32_e32 v15, v14, v58
	v_mul_f32_e32 v11, v56, v60
	v_fma_f32 v12, v45, v12, -v13
	v_fmac_f32_e32 v9, v45, v7
	v_mul_f32_e32 v7, v41, v44
	s_delay_alu instid0(VALU_DEP_1) | instskip(NEXT) | instid1(VALU_DEP_1)
	v_fmac_f32_e32 v7, v42, v43
	v_dual_mul_f32 v10, v7, v58 :: v_dual_fmac_f32 v15, v57, v7
	s_delay_alu instid0(VALU_DEP_4) | instskip(SKIP_1) | instid1(VALU_DEP_3)
	v_mul_f32_e32 v13, v20, v9
	v_mul_f32_e32 v7, v19, v9
	v_fma_f32 v10, v57, v14, -v10
	s_delay_alu instid0(VALU_DEP_4) | instskip(SKIP_3) | instid1(VALU_DEP_4)
	v_mul_f32_e32 v14, v16, v15
	v_mul_f32_e32 v9, v8, v15
	v_fma_f32 v15, v55, v59, -v11
	v_fmac_f32_e32 v7, v20, v12
	v_fma_f32 v8, v8, v10, -v14
	v_mul_f32_e32 v14, v28, v30
	s_delay_alu instid0(VALU_DEP_4)
	v_dual_fmac_f32 v9, v16, v10 :: v_dual_mul_f32 v16, v15, v32
	v_dual_fmac_f32 v5, v18, v6 :: v_dual_add_nc_u32 v18, 60, v112
	v_fma_f32 v6, v19, v12, -v13
	v_mul_f32_e32 v13, v55, v60
	v_fma_f32 v20, v27, v29, -v14
	v_mad_co_u64_u32 v[10:11], null, s8, v113, 0
	s_delay_alu instid0(VALU_DEP_2) | instskip(NEXT) | instid1(VALU_DEP_1)
	v_mul_f32_e32 v28, v20, v26
	v_dual_fmac_f32 v13, v56, v59 :: v_dual_fmac_f32 v28, v25, v24
	s_delay_alu instid0(VALU_DEP_1) | instskip(SKIP_1) | instid1(VALU_DEP_2)
	v_mul_f32_e32 v12, v13, v32
	v_fmac_f32_e32 v16, v31, v13
	v_fma_f32 v19, v31, v15, -v12
	v_mad_co_u64_u32 v[12:13], null, s8, v18, 0
	s_delay_alu instid0(VALU_DEP_3) | instskip(SKIP_1) | instid1(VALU_DEP_3)
	v_mul_f32_e32 v27, v21, v16
	v_mul_f32_e32 v16, v17, v16
	v_mad_co_u64_u32 v[14:15], null, s9, v113, v[11:12]
	s_delay_alu instid0(VALU_DEP_4) | instskip(NEXT) | instid1(VALU_DEP_4)
	v_mov_b32_e32 v11, v13
	v_fma_f32 v15, v17, v19, -v27
	v_dual_mul_f32 v13, v24, v26 :: v_dual_add_nc_u32 v24, 0x5c, v112
	v_fmac_f32_e32 v16, v21, v19
	s_delay_alu instid0(VALU_DEP_4) | instskip(SKIP_1) | instid1(VALU_DEP_4)
	v_mad_co_u64_u32 v[17:18], null, s9, v18, v[11:12]
	v_mov_b32_e32 v11, v14
	v_fma_f32 v14, v25, v20, -v13
	v_mad_co_u64_u32 v[19:20], null, s8, v24, 0
	v_add_nc_u32_e32 v26, 0xdc, v112
	s_delay_alu instid0(VALU_DEP_4) | instskip(SKIP_1) | instid1(VALU_DEP_2)
	v_lshlrev_b64_e32 v[10:11], 3, v[10:11]
	v_dual_mov_b32 v13, v17 :: v_dual_mul_f32 v18, v22, v28
	v_add_co_u32 v10, vcc_lo, v72, v10
	s_wait_alu 0xfffd
	s_delay_alu instid0(VALU_DEP_3) | instskip(NEXT) | instid1(VALU_DEP_3)
	v_add_co_ci_u32_e32 v11, vcc_lo, v73, v11, vcc_lo
	v_lshlrev_b64_e32 v[12:13], 3, v[12:13]
	v_fmac_f32_e32 v18, v23, v14
	global_store_b64 v[10:11], v[0:1], off
	v_mov_b32_e32 v0, v20
	v_add_co_u32 v10, vcc_lo, v72, v12
	s_wait_alu 0xfffd
	v_add_co_ci_u32_e32 v11, vcc_lo, v73, v13, vcc_lo
	s_delay_alu instid0(VALU_DEP_3)
	v_mad_co_u64_u32 v[0:1], null, s9, v24, v[0:1]
	v_mul_f32_e32 v21, v23, v28
	v_add_nc_u32_e32 v24, 0xbc, v112
	global_store_b64 v[10:11], v[2:3], off
	v_mov_b32_e32 v20, v0
	v_fma_f32 v17, v22, v14, -v21
	v_mad_co_u64_u32 v[10:11], null, s8, v24, 0
	v_add_nc_u32_e32 v21, 0x7c, v112
	v_add_nc_u32_e32 v22, 0x9c, v112
	s_delay_alu instid0(VALU_DEP_2) | instskip(NEXT) | instid1(VALU_DEP_2)
	v_mad_co_u64_u32 v[12:13], null, s8, v21, 0
	v_mad_co_u64_u32 v[1:2], null, s8, v22, 0
	s_delay_alu instid0(VALU_DEP_2) | instskip(SKIP_1) | instid1(VALU_DEP_3)
	v_mov_b32_e32 v0, v13
	v_lshlrev_b64_e32 v[13:14], 3, v[19:20]
	v_mad_co_u64_u32 v[2:3], null, s9, v22, v[2:3]
	s_delay_alu instid0(VALU_DEP_3) | instskip(SKIP_3) | instid1(VALU_DEP_3)
	v_mad_co_u64_u32 v[19:20], null, s9, v21, v[0:1]
	v_mov_b32_e32 v0, v11
	v_mad_co_u64_u32 v[20:21], null, s8, v26, 0
	v_add_co_u32 v22, vcc_lo, v72, v13
	v_mad_co_u64_u32 v[24:25], null, s9, v24, v[0:1]
	v_lshlrev_b64_e32 v[1:2], 3, v[1:2]
	s_wait_alu 0xfffd
	v_add_co_ci_u32_e32 v23, vcc_lo, v73, v14, vcc_lo
	v_dual_mov_b32 v13, v19 :: v_dual_mov_b32 v0, v21
	global_store_b64 v[22:23], v[4:5], off
	v_mov_b32_e32 v11, v24
	v_lshlrev_b64_e32 v[3:4], 3, v[12:13]
	v_mad_co_u64_u32 v[12:13], null, s9, v26, v[0:1]
	s_delay_alu instid0(VALU_DEP_3) | instskip(NEXT) | instid1(VALU_DEP_3)
	v_lshlrev_b64_e32 v[10:11], 3, v[10:11]
	v_add_co_u32 v3, vcc_lo, v72, v3
	s_wait_alu 0xfffd
	s_delay_alu instid0(VALU_DEP_4) | instskip(NEXT) | instid1(VALU_DEP_4)
	v_add_co_ci_u32_e32 v4, vcc_lo, v73, v4, vcc_lo
	v_mov_b32_e32 v21, v12
	v_add_co_u32 v0, vcc_lo, v72, v1
	s_wait_alu 0xfffd
	v_add_co_ci_u32_e32 v1, vcc_lo, v73, v2, vcc_lo
	s_delay_alu instid0(VALU_DEP_3) | instskip(SKIP_3) | instid1(VALU_DEP_3)
	v_lshlrev_b64_e32 v[12:13], 3, v[20:21]
	v_add_co_u32 v10, vcc_lo, v72, v10
	s_wait_alu 0xfffd
	v_add_co_ci_u32_e32 v11, vcc_lo, v73, v11, vcc_lo
	v_add_co_u32 v12, vcc_lo, v72, v12
	s_wait_alu 0xfffd
	v_add_co_ci_u32_e32 v13, vcc_lo, v73, v13, vcc_lo
	s_clause 0x3
	global_store_b64 v[3:4], v[6:7], off
	global_store_b64 v[0:1], v[8:9], off
	;; [unrolled: 1-line block ×4, first 2 shown]
	s_nop 0
	s_sendmsg sendmsg(MSG_DEALLOC_VGPRS)
	s_endpgm
	.section	.rodata,"a",@progbits
	.p2align	6, 0x0
	.amdhsa_kernel fft_rtc_fwd_len224_factors_2_4_4_7_wgs_252_tpt_14_dim2_sp_ip_CI_sbcc_twdbase8_3step_dirReg
		.amdhsa_group_segment_fixed_size 0
		.amdhsa_private_segment_fixed_size 0
		.amdhsa_kernarg_size 88
		.amdhsa_user_sgpr_count 2
		.amdhsa_user_sgpr_dispatch_ptr 0
		.amdhsa_user_sgpr_queue_ptr 0
		.amdhsa_user_sgpr_kernarg_segment_ptr 1
		.amdhsa_user_sgpr_dispatch_id 0
		.amdhsa_user_sgpr_private_segment_size 0
		.amdhsa_wavefront_size32 1
		.amdhsa_uses_dynamic_stack 0
		.amdhsa_enable_private_segment 0
		.amdhsa_system_sgpr_workgroup_id_x 1
		.amdhsa_system_sgpr_workgroup_id_y 0
		.amdhsa_system_sgpr_workgroup_id_z 0
		.amdhsa_system_sgpr_workgroup_info 0
		.amdhsa_system_vgpr_workitem_id 0
		.amdhsa_next_free_vgpr 133
		.amdhsa_next_free_sgpr 24
		.amdhsa_reserve_vcc 1
		.amdhsa_float_round_mode_32 0
		.amdhsa_float_round_mode_16_64 0
		.amdhsa_float_denorm_mode_32 3
		.amdhsa_float_denorm_mode_16_64 3
		.amdhsa_fp16_overflow 0
		.amdhsa_workgroup_processor_mode 1
		.amdhsa_memory_ordered 1
		.amdhsa_forward_progress 0
		.amdhsa_round_robin_scheduling 0
		.amdhsa_exception_fp_ieee_invalid_op 0
		.amdhsa_exception_fp_denorm_src 0
		.amdhsa_exception_fp_ieee_div_zero 0
		.amdhsa_exception_fp_ieee_overflow 0
		.amdhsa_exception_fp_ieee_underflow 0
		.amdhsa_exception_fp_ieee_inexact 0
		.amdhsa_exception_int_div_zero 0
	.end_amdhsa_kernel
	.text
.Lfunc_end0:
	.size	fft_rtc_fwd_len224_factors_2_4_4_7_wgs_252_tpt_14_dim2_sp_ip_CI_sbcc_twdbase8_3step_dirReg, .Lfunc_end0-fft_rtc_fwd_len224_factors_2_4_4_7_wgs_252_tpt_14_dim2_sp_ip_CI_sbcc_twdbase8_3step_dirReg
                                        ; -- End function
	.section	.AMDGPU.csdata,"",@progbits
; Kernel info:
; codeLenInByte = 14024
; NumSgprs: 26
; NumVgprs: 133
; ScratchSize: 0
; MemoryBound: 0
; FloatMode: 240
; IeeeMode: 1
; LDSByteSize: 0 bytes/workgroup (compile time only)
; SGPRBlocks: 3
; VGPRBlocks: 16
; NumSGPRsForWavesPerEU: 26
; NumVGPRsForWavesPerEU: 133
; Occupancy: 10
; WaveLimiterHint : 1
; COMPUTE_PGM_RSRC2:SCRATCH_EN: 0
; COMPUTE_PGM_RSRC2:USER_SGPR: 2
; COMPUTE_PGM_RSRC2:TRAP_HANDLER: 0
; COMPUTE_PGM_RSRC2:TGID_X_EN: 1
; COMPUTE_PGM_RSRC2:TGID_Y_EN: 0
; COMPUTE_PGM_RSRC2:TGID_Z_EN: 0
; COMPUTE_PGM_RSRC2:TIDIG_COMP_CNT: 0
	.text
	.p2alignl 7, 3214868480
	.fill 96, 4, 3214868480
	.type	__hip_cuid_a704b9d822c28fa,@object ; @__hip_cuid_a704b9d822c28fa
	.section	.bss,"aw",@nobits
	.globl	__hip_cuid_a704b9d822c28fa
__hip_cuid_a704b9d822c28fa:
	.byte	0                               ; 0x0
	.size	__hip_cuid_a704b9d822c28fa, 1

	.ident	"AMD clang version 19.0.0git (https://github.com/RadeonOpenCompute/llvm-project roc-6.4.0 25133 c7fe45cf4b819c5991fe208aaa96edf142730f1d)"
	.section	".note.GNU-stack","",@progbits
	.addrsig
	.addrsig_sym __hip_cuid_a704b9d822c28fa
	.amdgpu_metadata
---
amdhsa.kernels:
  - .args:
      - .actual_access:  read_only
        .address_space:  global
        .offset:         0
        .size:           8
        .value_kind:     global_buffer
      - .address_space:  global
        .offset:         8
        .size:           8
        .value_kind:     global_buffer
      - .actual_access:  read_only
        .address_space:  global
        .offset:         16
        .size:           8
        .value_kind:     global_buffer
      - .actual_access:  read_only
        .address_space:  global
        .offset:         24
        .size:           8
        .value_kind:     global_buffer
      - .offset:         32
        .size:           8
        .value_kind:     by_value
      - .actual_access:  read_only
        .address_space:  global
        .offset:         40
        .size:           8
        .value_kind:     global_buffer
      - .actual_access:  read_only
        .address_space:  global
        .offset:         48
        .size:           8
        .value_kind:     global_buffer
      - .offset:         56
        .size:           4
        .value_kind:     by_value
      - .actual_access:  read_only
        .address_space:  global
        .offset:         64
        .size:           8
        .value_kind:     global_buffer
      - .actual_access:  read_only
        .address_space:  global
        .offset:         72
        .size:           8
        .value_kind:     global_buffer
      - .address_space:  global
        .offset:         80
        .size:           8
        .value_kind:     global_buffer
    .group_segment_fixed_size: 0
    .kernarg_segment_align: 8
    .kernarg_segment_size: 88
    .language:       OpenCL C
    .language_version:
      - 2
      - 0
    .max_flat_workgroup_size: 252
    .name:           fft_rtc_fwd_len224_factors_2_4_4_7_wgs_252_tpt_14_dim2_sp_ip_CI_sbcc_twdbase8_3step_dirReg
    .private_segment_fixed_size: 0
    .sgpr_count:     26
    .sgpr_spill_count: 0
    .symbol:         fft_rtc_fwd_len224_factors_2_4_4_7_wgs_252_tpt_14_dim2_sp_ip_CI_sbcc_twdbase8_3step_dirReg.kd
    .uniform_work_group_size: 1
    .uses_dynamic_stack: false
    .vgpr_count:     133
    .vgpr_spill_count: 0
    .wavefront_size: 32
    .workgroup_processor_mode: 1
amdhsa.target:   amdgcn-amd-amdhsa--gfx1201
amdhsa.version:
  - 1
  - 2
...

	.end_amdgpu_metadata
